;; amdgpu-corpus repo=vllm-project/vllm kind=compiled arch=gfx1100 opt=O3
	.text
	.amdgcn_target "amdgcn-amd-amdhsa--gfx1100"
	.amdhsa_code_object_version 6
	.section	.text._ZN4vllm24merge_attn_states_kernelIfN3c1013Float8_e4m3fnELj128ELb1EEEvPT0_PfPKT_PKfS8_SA_jjjjjjSA_,"axG",@progbits,_ZN4vllm24merge_attn_states_kernelIfN3c1013Float8_e4m3fnELj128ELb1EEEvPT0_PfPKT_PKfS8_SA_jjjjjjSA_,comdat
	.protected	_ZN4vllm24merge_attn_states_kernelIfN3c1013Float8_e4m3fnELj128ELb1EEEvPT0_PfPKT_PKfS8_SA_jjjjjjSA_ ; -- Begin function _ZN4vllm24merge_attn_states_kernelIfN3c1013Float8_e4m3fnELj128ELb1EEEvPT0_PfPKT_PKfS8_SA_jjjjjjSA_
	.globl	_ZN4vllm24merge_attn_states_kernelIfN3c1013Float8_e4m3fnELj128ELb1EEEvPT0_PfPKT_PKfS8_SA_jjjjjjSA_
	.p2align	8
	.type	_ZN4vllm24merge_attn_states_kernelIfN3c1013Float8_e4m3fnELj128ELb1EEEvPT0_PfPKT_PKfS8_SA_jjjjjjSA_,@function
_ZN4vllm24merge_attn_states_kernelIfN3c1013Float8_e4m3fnELj128ELb1EEEvPT0_PfPKT_PKfS8_SA_jjjjjjSA_: ; @_ZN4vllm24merge_attn_states_kernelIfN3c1013Float8_e4m3fnELj128ELb1EEEvPT0_PfPKT_PKfS8_SA_jjjjjjSA_
; %bb.0:
	s_load_b128 s[16:19], s[0:1], 0x30
	v_lshl_add_u32 v0, s15, 7, v0
	s_waitcnt lgkmcnt(0)
	s_lshr_b32 s2, s18, 2
	s_mul_i32 s3, s17, s16
	s_delay_alu instid0(SALU_CYCLE_1) | instskip(NEXT) | instid1(SALU_CYCLE_1)
	s_mul_i32 s3, s3, s2
	v_cmp_gt_u32_e32 vcc_lo, s3, v0
	s_and_saveexec_b32 s3, vcc_lo
	s_cbranch_execz .LBB0_187
; %bb.1:
	v_cvt_f32_u32_e32 v1, s2
	v_cvt_f32_u32_e32 v3, s17
	s_sub_i32 s3, 0, s2
	s_clause 0x1
	s_load_b128 s[20:23], s[0:1], 0x40
	s_load_b128 s[12:15], s[0:1], 0x20
	v_rcp_iflag_f32_e32 v1, v1
	v_rcp_iflag_f32_e32 v3, v3
	s_sub_i32 s4, 0, s17
	s_waitcnt_depctr 0xfff
	v_mul_f32_e32 v1, 0x4f7ffffe, v1
	s_delay_alu instid0(VALU_DEP_1) | instskip(NEXT) | instid1(VALU_DEP_1)
	v_cvt_u32_f32_e32 v1, v1
	v_mul_lo_u32 v2, s3, v1
	s_waitcnt lgkmcnt(0)
	s_load_b32 s3, s[22:23], 0x0
	s_delay_alu instid0(VALU_DEP_1) | instskip(NEXT) | instid1(VALU_DEP_1)
	v_mul_hi_u32 v2, v1, v2
	v_dual_mul_f32 v2, 0x4f7ffffe, v3 :: v_dual_add_nc_u32 v1, v1, v2
	s_waitcnt lgkmcnt(0)
	v_div_scale_f32 v6, null, s3, s3, 1.0
	s_delay_alu instid0(VALU_DEP_2) | instskip(NEXT) | instid1(VALU_DEP_3)
	v_mul_hi_u32 v1, v0, v1
	v_cvt_u32_f32_e32 v2, v2
	s_delay_alu instid0(VALU_DEP_1) | instskip(SKIP_1) | instid1(VALU_DEP_3)
	v_mul_lo_u32 v4, s4, v2
	s_load_b256 s[4:11], s[0:1], 0x0
	v_mul_lo_u32 v3, v1, s2
	v_add_nc_u32_e32 v5, 1, v1
	s_delay_alu instid0(VALU_DEP_3) | instskip(NEXT) | instid1(VALU_DEP_3)
	v_mul_hi_u32 v4, v2, v4
	v_sub_nc_u32_e32 v3, v0, v3
	s_delay_alu instid0(VALU_DEP_1) | instskip(SKIP_1) | instid1(VALU_DEP_4)
	v_subrev_nc_u32_e32 v7, s2, v3
	v_cmp_le_u32_e32 vcc_lo, s2, v3
	v_dual_cndmask_b32 v1, v1, v5 :: v_dual_add_nc_u32 v2, v2, v4
	s_delay_alu instid0(VALU_DEP_3) | instskip(SKIP_1) | instid1(VALU_DEP_2)
	v_cndmask_b32_e32 v3, v3, v7, vcc_lo
	v_rcp_f32_e32 v5, v6
	v_add_nc_u32_e32 v7, 1, v1
	s_delay_alu instid0(VALU_DEP_2) | instskip(NEXT) | instid1(VALU_DEP_2)
	v_cmp_le_u32_e32 vcc_lo, s2, v3
	v_cndmask_b32_e32 v7, v1, v7, vcc_lo
	s_waitcnt_depctr 0xfff
	v_fma_f32 v1, -v6, v5, 1.0
	v_div_scale_f32 v3, vcc_lo, 1.0, s3, 1.0
	v_mul_hi_u32 v2, v7, v2
	s_delay_alu instid0(VALU_DEP_3) | instskip(NEXT) | instid1(VALU_DEP_1)
	v_fmac_f32_e32 v5, v1, v5
	v_mul_f32_e32 v8, v3, v5
	s_delay_alu instid0(VALU_DEP_3) | instskip(SKIP_1) | instid1(VALU_DEP_3)
	v_mul_lo_u32 v1, v2, s17
	v_add_nc_u32_e32 v9, 1, v2
	v_fma_f32 v4, -v6, v8, v3
	s_delay_alu instid0(VALU_DEP_3) | instskip(NEXT) | instid1(VALU_DEP_2)
	v_sub_nc_u32_e32 v1, v7, v1
	v_fmac_f32_e32 v8, v4, v5
	s_delay_alu instid0(VALU_DEP_2) | instskip(SKIP_1) | instid1(VALU_DEP_3)
	v_subrev_nc_u32_e32 v4, s17, v1
	v_cmp_le_u32_e64 s0, s17, v1
	v_fma_f32 v3, -v6, v8, v3
	s_delay_alu instid0(VALU_DEP_2) | instskip(NEXT) | instid1(VALU_DEP_4)
	v_cndmask_b32_e64 v9, v2, v9, s0
	v_cndmask_b32_e64 v4, v1, v4, s0
	v_mov_b32_e32 v2, 0
	s_delay_alu instid0(VALU_DEP_4) | instskip(NEXT) | instid1(VALU_DEP_4)
	v_div_fmas_f32 v3, v3, v5, v8
	v_add_nc_u32_e32 v6, 1, v9
	s_delay_alu instid0(VALU_DEP_4)
	v_cmp_le_u32_e64 s0, s17, v4
	v_mul_lo_u32 v10, v7, s2
	v_mul_lo_u32 v1, v7, s19
	;; [unrolled: 1-line block ×3, first 2 shown]
	v_div_fixup_f32 v18, v3, s3, 1.0
	v_cndmask_b32_e64 v4, v9, v6, s0
	v_sub_nc_u32_e32 v8, v0, v10
	v_lshlrev_b64 v[0:1], 2, v[1:2]
	s_delay_alu instid0(VALU_DEP_3) | instskip(SKIP_2) | instid1(VALU_DEP_1)
	v_mul_lo_u32 v6, v4, s17
	s_waitcnt lgkmcnt(0)
	v_add_co_u32 v16, s0, s4, v11
	v_add_co_ci_u32_e64 v17, null, s5, 0, s0
	s_delay_alu instid0(VALU_DEP_4)
	v_add_co_u32 v2, vcc_lo, s12, v0
	v_lshlrev_b32_e32 v5, 2, v8
	v_add_co_ci_u32_e32 v3, vcc_lo, s13, v1, vcc_lo
	v_sub_nc_u32_e32 v7, v7, v6
	s_mov_b32 s0, exec_lo
	v_cmpx_le_u32_e64 s21, v4
	s_xor_b32 s2, exec_lo, s0
	s_cbranch_execz .LBB0_63
; %bb.2:
	s_mov_b32 s3, exec_lo
	v_cmpx_gt_u32_e64 s18, v5
	s_cbranch_execz .LBB0_60
; %bb.3:
	v_mov_b32_e32 v9, 0
	s_mov_b32 s0, 0x43e00000
	s_delay_alu instid0(VALU_DEP_1) | instskip(NEXT) | instid1(VALU_DEP_1)
	v_lshlrev_b64 v[0:1], 4, v[8:9]
	v_add_co_u32 v0, vcc_lo, v2, v0
	s_delay_alu instid0(VALU_DEP_2)
	v_add_co_ci_u32_e32 v1, vcc_lo, v3, v1, vcc_lo
	global_load_b128 v[0:3], v[0:1], off
	s_waitcnt vmcnt(0)
	v_mul_f32_e32 v0, v18, v0
	v_mov_b32_e32 v14, v9
	v_mov_b32_e32 v6, v9
	s_delay_alu instid0(VALU_DEP_3) | instskip(SKIP_1) | instid1(VALU_DEP_1)
	v_minmax_f32 v11, v0, s0, 0xc3e00000
	s_mov_b32 s0, exec_lo
	v_lshrrev_b32_e32 v12, 24, v11
	v_and_b32_e32 v13, 0x7f800000, v11
	v_and_b32_e32 v5, 0x7fffff, v11
	s_delay_alu instid0(VALU_DEP_3) | instskip(NEXT) | instid1(VALU_DEP_1)
	v_and_b32_e32 v0, 0x80, v12
	v_or_b32_e32 v10, 0x7e, v0
	s_delay_alu instid0(VALU_DEP_4)
	v_cmpx_ne_u64_e32 0x7f800000, v[13:14]
	s_xor_b32 s4, exec_lo, s0
	s_cbranch_execz .LBB0_15
; %bb.4:
	v_dual_mov_b32 v13, v9 :: v_dual_and_b32 v12, 0x7fffffff, v11
	s_mov_b32 s5, exec_lo
	s_delay_alu instid0(VALU_DEP_1)
	v_cmpx_gt_u64_e32 0x43e00001, v[12:13]
	s_cbranch_execz .LBB0_14
; %bb.5:
	v_mov_b32_e32 v10, 0
	s_mov_b32 s12, exec_lo
	v_cmpx_ne_u32_e32 0, v11
	s_cbranch_execz .LBB0_13
; %bb.6:
	v_bfe_u32 v19, v11, 23, 8
	s_delay_alu instid0(VALU_DEP_1) | instskip(SKIP_2) | instid1(VALU_DEP_3)
	v_sub_nc_u32_e64 v10, 0x79, v19 clamp
	v_cmp_eq_u32_e32 vcc_lo, 0, v19
	v_add_nc_u32_e32 v19, 0xffffff88, v19
	v_cndmask_b32_e64 v20, v10, 0x78, vcc_lo
	v_or_b32_e32 v10, 0x800000, v5
	s_delay_alu instid0(VALU_DEP_2) | instskip(NEXT) | instid1(VALU_DEP_2)
	v_add_nc_u32_e32 v11, 20, v20
	v_dual_cndmask_b32 v5, v10, v5 :: v_dual_add_nc_u32 v12, 19, v20
	s_delay_alu instid0(VALU_DEP_2) | instskip(NEXT) | instid1(VALU_DEP_2)
	v_lshlrev_b64 v[10:11], v11, -1
	v_lshrrev_b64 v[14:15], v20, v[5:6]
	s_delay_alu instid0(VALU_DEP_3) | instskip(NEXT) | instid1(VALU_DEP_3)
	v_lshlrev_b64 v[12:13], v12, 1
	v_not_b32_e32 v6, v11
	s_delay_alu instid0(VALU_DEP_4) | instskip(NEXT) | instid1(VALU_DEP_4)
	v_not_b32_e32 v21, v10
	v_dual_mov_b32 v11, 0 :: v_dual_and_b32 v10, 0x100000, v14
	s_delay_alu instid0(VALU_DEP_3) | instskip(NEXT) | instid1(VALU_DEP_3)
	v_and_b32_e32 v6, 0, v6
	v_and_b32_e32 v5, v5, v21
	s_delay_alu instid0(VALU_DEP_3) | instskip(NEXT) | instid1(VALU_DEP_2)
	v_cmp_eq_u64_e64 s0, 0, v[10:11]
	v_cmp_eq_u64_e64 s1, v[5:6], v[12:13]
	v_cndmask_b32_e64 v5, v19, 0xffffff89, vcc_lo
	v_lshrrev_b32_e32 v6, 23, v14
	s_delay_alu instid0(VALU_DEP_3) | instskip(NEXT) | instid1(VALU_DEP_1)
	s_and_b32 vcc_lo, s0, s1
	v_add3_u32 v12, v5, v20, v6
	v_subrev_co_ci_u32_e32 v10, vcc_lo, 0, v14, vcc_lo
	s_mov_b32 s0, exec_lo
	s_delay_alu instid0(VALU_DEP_2) | instskip(NEXT) | instid1(VALU_DEP_2)
	v_add_nc_u32_e32 v13, -1, v12
	v_and_b32_e32 v5, 0xfffff, v10
                                        ; implicit-def: $vgpr10
	s_delay_alu instid0(VALU_DEP_1) | instskip(SKIP_1) | instid1(VALU_DEP_4)
	v_add_co_u32 v5, vcc_lo, v5, v14
	v_add_co_ci_u32_e32 v6, vcc_lo, 0, v15, vcc_lo
	v_cmpx_ne_u32_e32 0, v13
	s_xor_b32 s0, exec_lo, s0
; %bb.7:
	s_delay_alu instid0(VALU_DEP_3) | instskip(SKIP_1) | instid1(VALU_DEP_2)
	v_and_b32_e32 v10, 0x1000000, v5
	v_bfe_u32 v14, v5, 24, 1
	v_cmp_eq_u64_e32 vcc_lo, 0, v[10:11]
	s_delay_alu instid0(VALU_DEP_2)
	v_lshrrev_b64 v[5:6], v14, v[5:6]
	v_cndmask_b32_e32 v10, v12, v13, vcc_lo
; %bb.8:
	s_and_not1_saveexec_b32 s0, s0
; %bb.9:
	s_delay_alu instid0(VALU_DEP_2)
	v_bfe_u32 v10, v5, 23, 1
; %bb.10:
	s_or_b32 exec_lo, exec_lo, s0
	s_delay_alu instid0(VALU_DEP_3) | instskip(NEXT) | instid1(VALU_DEP_2)
	v_lshrrev_b64 v[5:6], 20, v[5:6]
	v_cmp_gt_i32_e32 vcc_lo, 16, v10
	v_cmp_ne_u32_e64 s0, 0, v10
	s_delay_alu instid0(VALU_DEP_3) | instskip(NEXT) | instid1(VALU_DEP_1)
	v_dual_cndmask_b32 v6, 0, v6 :: v_dual_cndmask_b32 v5, 7, v5
	v_cmp_ne_u64_e32 vcc_lo, 0, v[5:6]
	s_delay_alu instid0(VALU_DEP_3) | instskip(NEXT) | instid1(SALU_CYCLE_1)
	s_or_b32 s1, s0, vcc_lo
	s_and_saveexec_b32 s0, s1
; %bb.11:
	v_min_i32_e32 v6, 15, v10
	v_and_b32_e32 v5, 7, v5
	s_delay_alu instid0(VALU_DEP_2) | instskip(NEXT) | instid1(VALU_DEP_1)
	v_lshlrev_b32_e32 v6, 3, v6
	v_and_b32_e32 v6, 0xf8, v6
	s_delay_alu instid0(VALU_DEP_1)
	v_or3_b32 v0, v6, v5, v0
; %bb.12:
	s_or_b32 exec_lo, exec_lo, s0
	s_delay_alu instid0(VALU_DEP_1)
	v_mov_b32_e32 v10, v0
.LBB0_13:
	s_or_b32 exec_lo, exec_lo, s12
.LBB0_14:
	s_delay_alu instid0(SALU_CYCLE_1)
	s_or_b32 exec_lo, exec_lo, s5
                                        ; implicit-def: $vgpr12
                                        ; implicit-def: $vgpr5_vgpr6
.LBB0_15:
	s_and_not1_saveexec_b32 s0, s4
; %bb.16:
	v_cmp_eq_u64_e32 vcc_lo, 0, v[5:6]
	v_or_b32_e32 v0, 0x7f, v12
	s_delay_alu instid0(VALU_DEP_1)
	v_cndmask_b32_e32 v10, v0, v10, vcc_lo
; %bb.17:
	s_or_b32 exec_lo, exec_lo, s0
	v_dual_mul_f32 v0, v18, v1 :: v_dual_mov_b32 v1, 0
	s_mov_b32 s0, 0x43e00000
	s_delay_alu instid0(VALU_DEP_1) | instid1(SALU_CYCLE_1)
	v_minmax_f32 v5, v0, s0, 0xc3e00000
	s_mov_b32 s0, exec_lo
	s_delay_alu instid0(VALU_DEP_2) | instskip(NEXT) | instid1(VALU_DEP_2)
	v_mov_b32_e32 v14, v1
	v_lshrrev_b32_e32 v6, 24, v5
	v_and_b32_e32 v13, 0x7f800000, v5
	v_and_b32_e32 v0, 0x7fffff, v5
	s_delay_alu instid0(VALU_DEP_3) | instskip(NEXT) | instid1(VALU_DEP_1)
	v_and_b32_e32 v12, 0x80, v6
	v_or_b32_e32 v11, 0x7e, v12
	s_delay_alu instid0(VALU_DEP_4)
	v_cmpx_ne_u64_e32 0x7f800000, v[13:14]
	s_xor_b32 s4, exec_lo, s0
	s_cbranch_execz .LBB0_29
; %bb.18:
	v_dual_mov_b32 v14, v1 :: v_dual_and_b32 v13, 0x7fffffff, v5
	s_mov_b32 s5, exec_lo
	s_delay_alu instid0(VALU_DEP_1)
	v_cmpx_gt_u64_e32 0x43e00001, v[13:14]
	s_cbranch_execz .LBB0_28
; %bb.19:
	v_mov_b32_e32 v11, 0
	s_mov_b32 s12, exec_lo
	v_cmpx_ne_u32_e32 0, v5
	s_cbranch_execz .LBB0_27
; %bb.20:
	v_bfe_u32 v11, v5, 23, 8
	s_delay_alu instid0(VALU_DEP_1) | instskip(SKIP_2) | instid1(VALU_DEP_3)
	v_sub_nc_u32_e64 v5, 0x79, v11 clamp
	v_cmp_eq_u32_e32 vcc_lo, 0, v11
	v_add_nc_u32_e32 v11, 0xffffff88, v11
	v_cndmask_b32_e64 v13, v5, 0x78, vcc_lo
	v_or_b32_e32 v5, 0x800000, v0
	s_delay_alu instid0(VALU_DEP_2) | instskip(NEXT) | instid1(VALU_DEP_2)
	v_add_nc_u32_e32 v6, 20, v13
	v_dual_cndmask_b32 v0, v5, v0 :: v_dual_add_nc_u32 v19, 19, v13
	s_delay_alu instid0(VALU_DEP_2) | instskip(NEXT) | instid1(VALU_DEP_2)
	v_lshlrev_b64 v[5:6], v6, -1
	v_lshrrev_b64 v[14:15], v13, v[0:1]
	s_delay_alu instid0(VALU_DEP_3) | instskip(NEXT) | instid1(VALU_DEP_3)
	v_lshlrev_b64 v[19:20], v19, 1
	v_not_b32_e32 v1, v6
	s_delay_alu instid0(VALU_DEP_4) | instskip(NEXT) | instid1(VALU_DEP_4)
	v_not_b32_e32 v21, v5
	v_dual_mov_b32 v6, 0 :: v_dual_and_b32 v5, 0x100000, v14
	s_delay_alu instid0(VALU_DEP_3) | instskip(NEXT) | instid1(VALU_DEP_3)
	v_and_b32_e32 v1, 0, v1
	v_and_b32_e32 v0, v0, v21
	s_delay_alu instid0(VALU_DEP_3) | instskip(NEXT) | instid1(VALU_DEP_2)
	v_cmp_eq_u64_e64 s0, 0, v[5:6]
	v_cmp_eq_u64_e64 s1, v[0:1], v[19:20]
	v_cndmask_b32_e64 v0, v11, 0xffffff89, vcc_lo
	v_lshrrev_b32_e32 v1, 23, v14
	s_delay_alu instid0(VALU_DEP_3) | instskip(NEXT) | instid1(VALU_DEP_1)
	s_and_b32 vcc_lo, s0, s1
	v_add3_u32 v11, v0, v13, v1
	v_subrev_co_ci_u32_e32 v5, vcc_lo, 0, v14, vcc_lo
	s_mov_b32 s0, exec_lo
	s_delay_alu instid0(VALU_DEP_2) | instskip(NEXT) | instid1(VALU_DEP_2)
	v_add_nc_u32_e32 v13, -1, v11
	v_and_b32_e32 v0, 0xfffff, v5
                                        ; implicit-def: $vgpr5
	s_delay_alu instid0(VALU_DEP_1) | instskip(SKIP_1) | instid1(VALU_DEP_4)
	v_add_co_u32 v0, vcc_lo, v0, v14
	v_add_co_ci_u32_e32 v1, vcc_lo, 0, v15, vcc_lo
	v_cmpx_ne_u32_e32 0, v13
	s_xor_b32 s0, exec_lo, s0
; %bb.21:
	s_delay_alu instid0(VALU_DEP_3) | instskip(SKIP_1) | instid1(VALU_DEP_2)
	v_and_b32_e32 v5, 0x1000000, v0
	v_bfe_u32 v14, v0, 24, 1
	v_cmp_eq_u64_e32 vcc_lo, 0, v[5:6]
	s_delay_alu instid0(VALU_DEP_2)
	v_lshrrev_b64 v[0:1], v14, v[0:1]
	v_cndmask_b32_e32 v5, v11, v13, vcc_lo
; %bb.22:
	s_and_not1_saveexec_b32 s0, s0
; %bb.23:
	s_delay_alu instid0(VALU_DEP_2)
	v_bfe_u32 v5, v0, 23, 1
; %bb.24:
	s_or_b32 exec_lo, exec_lo, s0
	s_delay_alu instid0(VALU_DEP_3) | instskip(NEXT) | instid1(VALU_DEP_2)
	v_lshrrev_b64 v[0:1], 20, v[0:1]
	v_cmp_gt_i32_e32 vcc_lo, 16, v5
	v_cmp_ne_u32_e64 s0, 0, v5
	s_delay_alu instid0(VALU_DEP_3) | instskip(NEXT) | instid1(VALU_DEP_1)
	v_dual_cndmask_b32 v1, 0, v1 :: v_dual_cndmask_b32 v0, 7, v0
	v_cmp_ne_u64_e32 vcc_lo, 0, v[0:1]
	s_delay_alu instid0(VALU_DEP_3) | instskip(NEXT) | instid1(SALU_CYCLE_1)
	s_or_b32 s1, s0, vcc_lo
	s_and_saveexec_b32 s0, s1
; %bb.25:
	v_min_i32_e32 v1, 15, v5
	v_and_b32_e32 v0, 7, v0
	s_delay_alu instid0(VALU_DEP_2) | instskip(NEXT) | instid1(VALU_DEP_1)
	v_lshlrev_b32_e32 v1, 3, v1
	v_and_b32_e32 v1, 0xf8, v1
	s_delay_alu instid0(VALU_DEP_1)
	v_or3_b32 v12, v1, v0, v12
; %bb.26:
	s_or_b32 exec_lo, exec_lo, s0
	s_delay_alu instid0(VALU_DEP_1)
	v_mov_b32_e32 v11, v12
.LBB0_27:
	s_or_b32 exec_lo, exec_lo, s12
.LBB0_28:
	s_delay_alu instid0(SALU_CYCLE_1)
	s_or_b32 exec_lo, exec_lo, s5
                                        ; implicit-def: $vgpr6
                                        ; implicit-def: $vgpr0_vgpr1
.LBB0_29:
	s_and_not1_saveexec_b32 s0, s4
; %bb.30:
	v_cmp_eq_u64_e32 vcc_lo, 0, v[0:1]
	v_or_b32_e32 v5, 0x7f, v6
	s_delay_alu instid0(VALU_DEP_1)
	v_cndmask_b32_e32 v11, v5, v11, vcc_lo
; %bb.31:
	s_or_b32 exec_lo, exec_lo, s0
	v_dual_mul_f32 v0, v18, v2 :: v_dual_mov_b32 v1, 0
	s_mov_b32 s0, 0x43e00000
	s_delay_alu instid0(VALU_DEP_1) | instid1(SALU_CYCLE_1)
	v_minmax_f32 v6, v0, s0, 0xc3e00000
	s_mov_b32 s0, exec_lo
	s_delay_alu instid0(VALU_DEP_2) | instskip(NEXT) | instid1(VALU_DEP_2)
	v_mov_b32_e32 v14, v1
	v_lshrrev_b32_e32 v12, 24, v6
	v_and_b32_e32 v13, 0x7f800000, v6
	v_and_b32_e32 v0, 0x7fffff, v6
	s_delay_alu instid0(VALU_DEP_3) | instskip(NEXT) | instid1(VALU_DEP_1)
	v_and_b32_e32 v2, 0x80, v12
	v_or_b32_e32 v5, 0x7e, v2
	s_delay_alu instid0(VALU_DEP_4)
	v_cmpx_ne_u64_e32 0x7f800000, v[13:14]
	s_xor_b32 s4, exec_lo, s0
	s_cbranch_execz .LBB0_43
; %bb.32:
	v_dual_mov_b32 v13, v1 :: v_dual_and_b32 v12, 0x7fffffff, v6
	s_mov_b32 s5, exec_lo
	s_delay_alu instid0(VALU_DEP_1)
	v_cmpx_gt_u64_e32 0x43e00001, v[12:13]
	s_cbranch_execz .LBB0_42
; %bb.33:
	v_mov_b32_e32 v5, 0
	s_mov_b32 s12, exec_lo
	v_cmpx_ne_u32_e32 0, v6
	s_cbranch_execz .LBB0_41
; %bb.34:
	v_bfe_u32 v19, v6, 23, 8
	s_delay_alu instid0(VALU_DEP_1) | instskip(SKIP_2) | instid1(VALU_DEP_3)
	v_sub_nc_u32_e64 v5, 0x79, v19 clamp
	v_cmp_eq_u32_e32 vcc_lo, 0, v19
	v_add_nc_u32_e32 v19, 0xffffff88, v19
	v_cndmask_b32_e64 v20, v5, 0x78, vcc_lo
	v_or_b32_e32 v5, 0x800000, v0
	s_delay_alu instid0(VALU_DEP_2) | instskip(NEXT) | instid1(VALU_DEP_2)
	v_add_nc_u32_e32 v6, 20, v20
	v_cndmask_b32_e32 v0, v5, v0, vcc_lo
	v_add_nc_u32_e32 v12, 19, v20
	s_delay_alu instid0(VALU_DEP_3) | instskip(NEXT) | instid1(VALU_DEP_3)
	v_lshlrev_b64 v[5:6], v6, -1
	v_lshrrev_b64 v[14:15], v20, v[0:1]
	s_delay_alu instid0(VALU_DEP_3) | instskip(NEXT) | instid1(VALU_DEP_3)
	v_lshlrev_b64 v[12:13], v12, 1
	v_not_b32_e32 v1, v6
	s_delay_alu instid0(VALU_DEP_4) | instskip(NEXT) | instid1(VALU_DEP_4)
	v_not_b32_e32 v21, v5
	v_dual_mov_b32 v6, 0 :: v_dual_and_b32 v5, 0x100000, v14
	s_delay_alu instid0(VALU_DEP_3) | instskip(NEXT) | instid1(VALU_DEP_3)
	v_and_b32_e32 v1, 0, v1
	v_and_b32_e32 v0, v0, v21
	s_delay_alu instid0(VALU_DEP_3) | instskip(NEXT) | instid1(VALU_DEP_2)
	v_cmp_eq_u64_e64 s0, 0, v[5:6]
	v_cmp_eq_u64_e64 s1, v[0:1], v[12:13]
	v_cndmask_b32_e64 v0, v19, 0xffffff89, vcc_lo
	v_lshrrev_b32_e32 v1, 23, v14
	s_delay_alu instid0(VALU_DEP_3) | instskip(NEXT) | instid1(VALU_DEP_1)
	s_and_b32 vcc_lo, s0, s1
	v_add3_u32 v12, v0, v20, v1
	v_subrev_co_ci_u32_e32 v5, vcc_lo, 0, v14, vcc_lo
	s_mov_b32 s0, exec_lo
	s_delay_alu instid0(VALU_DEP_2) | instskip(NEXT) | instid1(VALU_DEP_2)
	v_add_nc_u32_e32 v13, -1, v12
	v_and_b32_e32 v0, 0xfffff, v5
                                        ; implicit-def: $vgpr5
	s_delay_alu instid0(VALU_DEP_1) | instskip(SKIP_1) | instid1(VALU_DEP_4)
	v_add_co_u32 v0, vcc_lo, v0, v14
	v_add_co_ci_u32_e32 v1, vcc_lo, 0, v15, vcc_lo
	v_cmpx_ne_u32_e32 0, v13
	s_xor_b32 s0, exec_lo, s0
; %bb.35:
	s_delay_alu instid0(VALU_DEP_3) | instskip(SKIP_1) | instid1(VALU_DEP_2)
	v_and_b32_e32 v5, 0x1000000, v0
	v_bfe_u32 v14, v0, 24, 1
	v_cmp_eq_u64_e32 vcc_lo, 0, v[5:6]
	s_delay_alu instid0(VALU_DEP_2)
	v_lshrrev_b64 v[0:1], v14, v[0:1]
	v_cndmask_b32_e32 v5, v12, v13, vcc_lo
; %bb.36:
	s_and_not1_saveexec_b32 s0, s0
; %bb.37:
	s_delay_alu instid0(VALU_DEP_2)
	v_bfe_u32 v5, v0, 23, 1
; %bb.38:
	s_or_b32 exec_lo, exec_lo, s0
	s_delay_alu instid0(VALU_DEP_3) | instskip(NEXT) | instid1(VALU_DEP_2)
	v_lshrrev_b64 v[0:1], 20, v[0:1]
	v_cmp_gt_i32_e32 vcc_lo, 16, v5
	v_cmp_ne_u32_e64 s0, 0, v5
	s_delay_alu instid0(VALU_DEP_3) | instskip(NEXT) | instid1(VALU_DEP_1)
	v_dual_cndmask_b32 v1, 0, v1 :: v_dual_cndmask_b32 v0, 7, v0
	v_cmp_ne_u64_e32 vcc_lo, 0, v[0:1]
	s_delay_alu instid0(VALU_DEP_3) | instskip(NEXT) | instid1(SALU_CYCLE_1)
	s_or_b32 s1, s0, vcc_lo
	s_and_saveexec_b32 s0, s1
; %bb.39:
	v_min_i32_e32 v1, 15, v5
	v_and_b32_e32 v0, 7, v0
	s_delay_alu instid0(VALU_DEP_2) | instskip(NEXT) | instid1(VALU_DEP_1)
	v_lshlrev_b32_e32 v1, 3, v1
	v_and_b32_e32 v1, 0xf8, v1
	s_delay_alu instid0(VALU_DEP_1)
	v_or3_b32 v2, v1, v0, v2
; %bb.40:
	s_or_b32 exec_lo, exec_lo, s0
	s_delay_alu instid0(VALU_DEP_1)
	v_mov_b32_e32 v5, v2
.LBB0_41:
	s_or_b32 exec_lo, exec_lo, s12
.LBB0_42:
	s_delay_alu instid0(SALU_CYCLE_1)
	s_or_b32 exec_lo, exec_lo, s5
                                        ; implicit-def: $vgpr12
                                        ; implicit-def: $vgpr0_vgpr1
.LBB0_43:
	s_and_not1_saveexec_b32 s0, s4
; %bb.44:
	v_cmp_eq_u64_e32 vcc_lo, 0, v[0:1]
	v_or_b32_e32 v2, 0x7f, v12
	s_delay_alu instid0(VALU_DEP_1)
	v_cndmask_b32_e32 v5, v2, v5, vcc_lo
; %bb.45:
	s_or_b32 exec_lo, exec_lo, s0
	v_dual_mul_f32 v0, v18, v3 :: v_dual_mov_b32 v1, 0
	s_mov_b32 s0, 0x43e00000
	s_delay_alu instid0(VALU_DEP_1) | instid1(SALU_CYCLE_1)
	v_minmax_f32 v3, v0, s0, 0xc3e00000
	s_mov_b32 s0, exec_lo
	s_delay_alu instid0(VALU_DEP_2) | instskip(NEXT) | instid1(VALU_DEP_2)
	v_mov_b32_e32 v14, v1
	v_lshrrev_b32_e32 v12, 24, v3
	v_and_b32_e32 v13, 0x7f800000, v3
	v_and_b32_e32 v0, 0x7fffff, v3
	s_delay_alu instid0(VALU_DEP_3) | instskip(NEXT) | instid1(VALU_DEP_1)
	v_and_b32_e32 v6, 0x80, v12
	v_or_b32_e32 v2, 0x7e, v6
	s_delay_alu instid0(VALU_DEP_4)
	v_cmpx_ne_u64_e32 0x7f800000, v[13:14]
	s_xor_b32 s4, exec_lo, s0
	s_cbranch_execz .LBB0_57
; %bb.46:
	v_dual_mov_b32 v13, v1 :: v_dual_and_b32 v12, 0x7fffffff, v3
	s_mov_b32 s5, exec_lo
	s_delay_alu instid0(VALU_DEP_1)
	v_cmpx_gt_u64_e32 0x43e00001, v[12:13]
	s_cbranch_execz .LBB0_56
; %bb.47:
	v_mov_b32_e32 v2, 0
	s_mov_b32 s12, exec_lo
	v_cmpx_ne_u32_e32 0, v3
	s_cbranch_execz .LBB0_55
; %bb.48:
	v_bfe_u32 v18, v3, 23, 8
	s_delay_alu instid0(VALU_DEP_1) | instskip(SKIP_2) | instid1(VALU_DEP_3)
	v_sub_nc_u32_e64 v2, 0x79, v18 clamp
	v_cmp_eq_u32_e32 vcc_lo, 0, v18
	v_add_nc_u32_e32 v18, 0xffffff88, v18
	v_cndmask_b32_e64 v19, v2, 0x78, vcc_lo
	v_or_b32_e32 v2, 0x800000, v0
	s_delay_alu instid0(VALU_DEP_1) | instskip(SKIP_1) | instid1(VALU_DEP_2)
	v_dual_cndmask_b32 v0, v2, v0 :: v_dual_add_nc_u32 v3, 20, v19
	v_add_nc_u32_e32 v12, 19, v19
	v_lshlrev_b64 v[2:3], v3, -1
	s_delay_alu instid0(VALU_DEP_3) | instskip(NEXT) | instid1(VALU_DEP_2)
	v_lshrrev_b64 v[14:15], v19, v[0:1]
	v_not_b32_e32 v1, v3
	v_mov_b32_e32 v3, 0
	s_delay_alu instid0(VALU_DEP_4) | instskip(SKIP_3) | instid1(VALU_DEP_4)
	v_not_b32_e32 v20, v2
	v_lshlrev_b64 v[12:13], v12, 1
	v_and_b32_e32 v2, 0x100000, v14
	v_and_b32_e32 v1, 0, v1
	;; [unrolled: 1-line block ×3, first 2 shown]
	s_delay_alu instid0(VALU_DEP_3) | instskip(NEXT) | instid1(VALU_DEP_2)
	v_cmp_eq_u64_e64 s0, 0, v[2:3]
	v_cmp_eq_u64_e64 s1, v[0:1], v[12:13]
	v_cndmask_b32_e64 v0, v18, 0xffffff89, vcc_lo
	v_lshrrev_b32_e32 v1, 23, v14
	s_delay_alu instid0(VALU_DEP_3) | instskip(NEXT) | instid1(VALU_DEP_1)
	s_and_b32 vcc_lo, s0, s1
	v_add3_u32 v12, v0, v19, v1
	v_subrev_co_ci_u32_e32 v2, vcc_lo, 0, v14, vcc_lo
	s_mov_b32 s0, exec_lo
	s_delay_alu instid0(VALU_DEP_2) | instskip(NEXT) | instid1(VALU_DEP_2)
	v_add_nc_u32_e32 v13, -1, v12
	v_and_b32_e32 v0, 0xfffff, v2
                                        ; implicit-def: $vgpr2
	s_delay_alu instid0(VALU_DEP_1) | instskip(SKIP_1) | instid1(VALU_DEP_4)
	v_add_co_u32 v0, vcc_lo, v0, v14
	v_add_co_ci_u32_e32 v1, vcc_lo, 0, v15, vcc_lo
	v_cmpx_ne_u32_e32 0, v13
	s_xor_b32 s0, exec_lo, s0
; %bb.49:
	s_delay_alu instid0(VALU_DEP_3) | instskip(SKIP_1) | instid1(VALU_DEP_2)
	v_and_b32_e32 v2, 0x1000000, v0
	v_bfe_u32 v14, v0, 24, 1
	v_cmp_eq_u64_e32 vcc_lo, 0, v[2:3]
	s_delay_alu instid0(VALU_DEP_2)
	v_lshrrev_b64 v[0:1], v14, v[0:1]
	v_cndmask_b32_e32 v2, v12, v13, vcc_lo
; %bb.50:
	s_and_not1_saveexec_b32 s0, s0
; %bb.51:
	s_delay_alu instid0(VALU_DEP_2)
	v_bfe_u32 v2, v0, 23, 1
; %bb.52:
	s_or_b32 exec_lo, exec_lo, s0
	s_delay_alu instid0(VALU_DEP_3) | instskip(NEXT) | instid1(VALU_DEP_2)
	v_lshrrev_b64 v[0:1], 20, v[0:1]
	v_cmp_gt_i32_e32 vcc_lo, 16, v2
	v_cmp_ne_u32_e64 s0, 0, v2
	s_delay_alu instid0(VALU_DEP_3) | instskip(NEXT) | instid1(VALU_DEP_1)
	v_dual_cndmask_b32 v1, 0, v1 :: v_dual_cndmask_b32 v0, 7, v0
	v_cmp_ne_u64_e32 vcc_lo, 0, v[0:1]
	s_delay_alu instid0(VALU_DEP_3) | instskip(NEXT) | instid1(SALU_CYCLE_1)
	s_or_b32 s1, s0, vcc_lo
	s_and_saveexec_b32 s0, s1
; %bb.53:
	v_min_i32_e32 v1, 15, v2
	v_and_b32_e32 v0, 7, v0
	s_delay_alu instid0(VALU_DEP_2) | instskip(NEXT) | instid1(VALU_DEP_1)
	v_lshlrev_b32_e32 v1, 3, v1
	v_and_b32_e32 v1, 0xf8, v1
	s_delay_alu instid0(VALU_DEP_1)
	v_or3_b32 v6, v1, v0, v6
; %bb.54:
	s_or_b32 exec_lo, exec_lo, s0
	s_delay_alu instid0(VALU_DEP_1)
	v_mov_b32_e32 v2, v6
.LBB0_55:
	s_or_b32 exec_lo, exec_lo, s12
.LBB0_56:
	s_delay_alu instid0(SALU_CYCLE_1)
	s_or_b32 exec_lo, exec_lo, s5
                                        ; implicit-def: $vgpr12
                                        ; implicit-def: $vgpr0_vgpr1
.LBB0_57:
	s_and_not1_saveexec_b32 s0, s4
; %bb.58:
	v_cmp_eq_u64_e32 vcc_lo, 0, v[0:1]
	v_or_b32_e32 v3, 0x7f, v12
	s_delay_alu instid0(VALU_DEP_1)
	v_cndmask_b32_e32 v2, v3, v2, vcc_lo
; %bb.59:
	s_or_b32 exec_lo, exec_lo, s0
	v_lshlrev_b32_e32 v0, 16, v5
	v_lshlrev_b32_e32 v3, 8, v11
	s_delay_alu instid0(VALU_DEP_2) | instskip(SKIP_1) | instid1(VALU_DEP_2)
	v_lshl_or_b32 v2, v2, 24, v0
	v_lshlrev_b64 v[0:1], 2, v[8:9]
	v_or3_b32 v2, v2, v3, v10
	s_delay_alu instid0(VALU_DEP_2) | instskip(NEXT) | instid1(VALU_DEP_3)
	v_add_co_u32 v0, vcc_lo, v16, v0
	v_add_co_ci_u32_e32 v1, vcc_lo, v17, v1, vcc_lo
	global_store_b32 v[0:1], v2, off
.LBB0_60:
	s_or_b32 exec_lo, exec_lo, s3
	v_cmp_eq_u32_e32 vcc_lo, 0, v8
	s_cmp_lg_u64 s[6:7], 0
	s_cselect_b32 s0, -1, 0
	s_delay_alu instid0(SALU_CYCLE_1) | instskip(NEXT) | instid1(SALU_CYCLE_1)
	s_and_b32 s1, s0, vcc_lo
	s_and_saveexec_b32 s0, s1
	s_cbranch_execz .LBB0_62
; %bb.61:
	v_mad_u64_u32 v[0:1], null, v7, s16, v[4:5]
	v_mov_b32_e32 v1, 0
	s_delay_alu instid0(VALU_DEP_1) | instskip(NEXT) | instid1(VALU_DEP_1)
	v_lshlrev_b64 v[0:1], 2, v[0:1]
	v_add_co_u32 v2, vcc_lo, s14, v0
	s_delay_alu instid0(VALU_DEP_2)
	v_add_co_ci_u32_e32 v3, vcc_lo, s15, v1, vcc_lo
	v_add_co_u32 v0, vcc_lo, s6, v0
	v_add_co_ci_u32_e32 v1, vcc_lo, s7, v1, vcc_lo
	global_load_b32 v2, v[2:3], off
	s_waitcnt vmcnt(0)
	global_store_b32 v[0:1], v2, off
.LBB0_62:
	s_or_b32 exec_lo, exec_lo, s0
                                        ; implicit-def: $vgpr8
                                        ; implicit-def: $vgpr4
                                        ; implicit-def: $vgpr7
                                        ; implicit-def: $vgpr5
                                        ; implicit-def: $vgpr0_vgpr1
                                        ; implicit-def: $vgpr18
                                        ; implicit-def: $vgpr2
                                        ; implicit-def: $vgpr3
                                        ; implicit-def: $vgpr16
                                        ; implicit-def: $vgpr17
.LBB0_63:
	s_and_not1_saveexec_b32 s0, s2
	s_cbranch_execz .LBB0_187
; %bb.64:
	v_mad_u64_u32 v[9:10], null, v7, s16, v[4:5]
	v_mov_b32_e32 v10, 0
	s_mov_b32 s1, exec_lo
	s_delay_alu instid0(VALU_DEP_1) | instskip(NEXT) | instid1(VALU_DEP_1)
	v_lshlrev_b64 v[10:11], 2, v[9:10]
	v_add_co_u32 v6, vcc_lo, s10, v10
	s_delay_alu instid0(VALU_DEP_2)
	v_add_co_ci_u32_e32 v7, vcc_lo, s11, v11, vcc_lo
	v_add_co_u32 v12, vcc_lo, s14, v10
	v_add_co_ci_u32_e32 v13, vcc_lo, s15, v11, vcc_lo
	global_load_b32 v4, v[6:7], off
	global_load_b32 v6, v[12:13], off
	s_waitcnt vmcnt(1)
	v_cmp_neq_f32_e64 vcc_lo, 0x7f800000, |v4|
	v_cndmask_b32_e32 v4, 0xff800000, v4, vcc_lo
	s_waitcnt vmcnt(0)
	v_cmp_neq_f32_e64 vcc_lo, 0x7f800000, |v6|
	v_cndmask_b32_e32 v6, 0xff800000, v6, vcc_lo
	v_add_co_u32 v0, vcc_lo, s8, v0
	v_add_co_ci_u32_e32 v1, vcc_lo, s9, v1, vcc_lo
	s_delay_alu instid0(VALU_DEP_3) | instskip(SKIP_1) | instid1(VALU_DEP_1)
	v_max_f32_e32 v9, v6, v6
	v_max_f32_e32 v7, v4, v4
	;; [unrolled: 1-line block ×3, first 2 shown]
	s_delay_alu instid0(VALU_DEP_1)
	v_cmpx_neq_f32_e64 0x7f800000, |v19|
	s_xor_b32 s2, exec_lo, s1
	s_cbranch_execz .LBB0_126
; %bb.65:
	v_sub_f32_e32 v6, v6, v19
	v_sub_f32_e32 v4, v4, v19
	s_mov_b32 s3, exec_lo
	s_delay_alu instid0(VALU_DEP_2) | instskip(NEXT) | instid1(VALU_DEP_2)
	v_mul_f32_e32 v9, 0x3fb8aa3b, v6
	v_mul_f32_e32 v7, 0x3fb8aa3b, v4
	v_cmp_ngt_f32_e32 vcc_lo, 0xc2ce8ed0, v4
	s_delay_alu instid0(VALU_DEP_3) | instskip(NEXT) | instid1(VALU_DEP_3)
	v_fma_f32 v14, 0x3fb8aa3b, v6, -v9
	v_fma_f32 v12, 0x3fb8aa3b, v4, -v7
	v_rndne_f32_e32 v13, v7
	v_rndne_f32_e32 v15, v9
	s_delay_alu instid0(VALU_DEP_4) | instskip(NEXT) | instid1(VALU_DEP_3)
	v_fmac_f32_e32 v14, 0x32a5705f, v6
	v_dual_fmac_f32 v12, 0x32a5705f, v4 :: v_dual_sub_f32 v7, v7, v13
	s_delay_alu instid0(VALU_DEP_3) | instskip(NEXT) | instid1(VALU_DEP_2)
	v_sub_f32_e32 v9, v9, v15
	v_add_f32_e32 v7, v7, v12
	v_cvt_i32_f32_e32 v12, v13
	v_cvt_i32_f32_e32 v13, v15
	s_delay_alu instid0(VALU_DEP_3) | instskip(SKIP_2) | instid1(VALU_DEP_1)
	v_exp_f32_e32 v7, v7
	s_waitcnt_depctr 0xfff
	v_ldexp_f32 v7, v7, v12
	v_cndmask_b32_e32 v7, 0, v7, vcc_lo
	v_add_f32_e32 v9, v9, v14
	v_cmp_ngt_f32_e32 vcc_lo, 0xc2ce8ed0, v6
	s_delay_alu instid0(VALU_DEP_2) | instskip(SKIP_2) | instid1(VALU_DEP_1)
	v_exp_f32_e32 v9, v9
	s_waitcnt_depctr 0xfff
	v_ldexp_f32 v9, v9, v13
	v_cndmask_b32_e32 v9, 0, v9, vcc_lo
	v_cmp_nlt_f32_e32 vcc_lo, 0x42b17218, v4
	v_cndmask_b32_e32 v12, 0x7f800000, v7, vcc_lo
	v_cmp_nlt_f32_e32 vcc_lo, 0x42b17218, v6
	s_delay_alu instid0(VALU_DEP_4) | instskip(NEXT) | instid1(VALU_DEP_1)
	v_cndmask_b32_e32 v13, 0x7f800000, v9, vcc_lo
	v_add_f32_e32 v20, v12, v13
	v_cmpx_gt_u32_e64 s18, v5
	s_cbranch_execz .LBB0_123
; %bb.66:
	s_delay_alu instid0(VALU_DEP_2) | instskip(SKIP_1) | instid1(VALU_DEP_2)
	v_div_scale_f32 v15, null, v20, v20, v12
	v_div_scale_f32 v14, null, v20, v20, v13
	v_rcp_f32_e32 v22, v15
	s_delay_alu instid0(VALU_DEP_1) | instskip(SKIP_4) | instid1(VALU_DEP_3)
	v_rcp_f32_e32 v21, v14
	s_waitcnt_depctr 0xfff
	v_fma_f32 v24, -v15, v22, 1.0
	v_mov_b32_e32 v9, 0
	v_fma_f32 v23, -v14, v21, 1.0
	v_fmac_f32_e32 v22, v24, v22
	s_delay_alu instid0(VALU_DEP_3) | instskip(SKIP_1) | instid1(VALU_DEP_1)
	v_lshlrev_b64 v[4:5], 4, v[8:9]
	v_div_scale_f32 v24, s0, v12, v20, v12
	v_dual_fmac_f32 v21, v23, v21 :: v_dual_mul_f32 v26, v24, v22
	s_delay_alu instid0(VALU_DEP_3) | instskip(NEXT) | instid1(VALU_DEP_4)
	v_add_co_u32 v2, vcc_lo, v2, v4
	v_add_co_ci_u32_e32 v3, vcc_lo, v3, v5, vcc_lo
	v_add_co_u32 v0, vcc_lo, v0, v4
	v_add_co_ci_u32_e32 v1, vcc_lo, v1, v5, vcc_lo
	global_load_b128 v[4:7], v[2:3], off
	global_load_b128 v[0:3], v[0:1], off
	v_div_scale_f32 v23, vcc_lo, v13, v20, v13
	v_fma_f32 v28, -v15, v26, v24
	s_delay_alu instid0(VALU_DEP_1) | instskip(NEXT) | instid1(VALU_DEP_1)
	v_dual_mul_f32 v25, v23, v21 :: v_dual_fmac_f32 v26, v28, v22
	v_fma_f32 v27, -v14, v25, v23
	s_delay_alu instid0(VALU_DEP_2) | instskip(NEXT) | instid1(VALU_DEP_2)
	v_fma_f32 v15, -v15, v26, v24
	v_dual_mov_b32 v24, v9 :: v_dual_fmac_f32 v25, v27, v21
	s_delay_alu instid0(VALU_DEP_1) | instskip(NEXT) | instid1(VALU_DEP_1)
	v_fma_f32 v14, -v14, v25, v23
	v_div_fmas_f32 v14, v14, v21, v25
	s_mov_b32 vcc_lo, s0
	s_mov_b32 s0, 0x43e00000
	v_div_fmas_f32 v15, v15, v22, v26
	s_delay_alu instid0(VALU_DEP_2) | instskip(SKIP_1) | instid1(VALU_DEP_3)
	v_div_fixup_f32 v22, v14, v20, v13
	v_mov_b32_e32 v13, v9
	v_div_fixup_f32 v21, v15, v20, v12
	s_waitcnt vmcnt(1)
	s_delay_alu instid0(VALU_DEP_3) | instskip(SKIP_1) | instid1(VALU_DEP_1)
	v_mul_f32_e32 v4, v22, v4
	s_waitcnt vmcnt(0)
	v_fmac_f32_e32 v4, v21, v0
	s_delay_alu instid0(VALU_DEP_1) | instskip(NEXT) | instid1(VALU_DEP_1)
	v_mul_f32_e32 v0, v18, v4
	v_minmax_f32 v4, v0, s0, 0xc3e00000
	s_mov_b32 s0, exec_lo
	s_delay_alu instid0(VALU_DEP_1) | instskip(SKIP_2) | instid1(VALU_DEP_3)
	v_lshrrev_b32_e32 v15, 24, v4
	v_and_b32_e32 v23, 0x7f800000, v4
	v_and_b32_e32 v12, 0x7fffff, v4
	;; [unrolled: 1-line block ×3, first 2 shown]
	s_delay_alu instid0(VALU_DEP_1) | instskip(NEXT) | instid1(VALU_DEP_4)
	v_or_b32_e32 v14, 0x7e, v0
	v_cmpx_ne_u64_e32 0x7f800000, v[23:24]
	s_xor_b32 s4, exec_lo, s0
	s_cbranch_execz .LBB0_78
; %bb.67:
	v_dual_mov_b32 v24, v9 :: v_dual_and_b32 v23, 0x7fffffff, v4
	s_mov_b32 s5, exec_lo
	s_delay_alu instid0(VALU_DEP_1)
	v_cmpx_gt_u64_e32 0x43e00001, v[23:24]
	s_cbranch_execz .LBB0_77
; %bb.68:
	v_mov_b32_e32 v14, 0
	s_mov_b32 s8, exec_lo
	v_cmpx_ne_u32_e32 0, v4
	s_cbranch_execz .LBB0_76
; %bb.69:
	v_bfe_u32 v4, v4, 23, 8
	s_delay_alu instid0(VALU_DEP_1) | instskip(SKIP_2) | instid1(VALU_DEP_3)
	v_sub_nc_u32_e64 v14, 0x79, v4 clamp
	v_cmp_eq_u32_e32 vcc_lo, 0, v4
	v_add_nc_u32_e32 v4, 0xffffff88, v4
	v_cndmask_b32_e64 v27, v14, 0x78, vcc_lo
	v_or_b32_e32 v14, 0x800000, v12
	s_delay_alu instid0(VALU_DEP_3) | instskip(NEXT) | instid1(VALU_DEP_2)
	v_cndmask_b32_e64 v4, v4, 0xffffff89, vcc_lo
	v_dual_cndmask_b32 v12, v14, v12 :: v_dual_add_nc_u32 v15, 20, v27
	v_add_nc_u32_e32 v23, 19, v27
	s_delay_alu instid0(VALU_DEP_2) | instskip(NEXT) | instid1(VALU_DEP_3)
	v_lshlrev_b64 v[14:15], v15, -1
	v_lshrrev_b64 v[25:26], v27, v[12:13]
	s_delay_alu instid0(VALU_DEP_3) | instskip(NEXT) | instid1(VALU_DEP_3)
	v_lshlrev_b64 v[23:24], v23, 1
	v_not_b32_e32 v13, v15
	s_delay_alu instid0(VALU_DEP_4) | instskip(NEXT) | instid1(VALU_DEP_4)
	v_not_b32_e32 v28, v14
	v_dual_mov_b32 v15, 0 :: v_dual_and_b32 v14, 0x100000, v25
	s_delay_alu instid0(VALU_DEP_3) | instskip(NEXT) | instid1(VALU_DEP_3)
	v_and_b32_e32 v13, 0, v13
	v_and_b32_e32 v12, v12, v28
	s_delay_alu instid0(VALU_DEP_3) | instskip(NEXT) | instid1(VALU_DEP_2)
	v_cmp_eq_u64_e64 s0, 0, v[14:15]
	v_cmp_eq_u64_e64 s1, v[12:13], v[23:24]
	v_lshrrev_b32_e32 v12, 23, v25
	s_delay_alu instid0(VALU_DEP_1) | instskip(NEXT) | instid1(VALU_DEP_3)
	v_add3_u32 v23, v4, v27, v12
	s_and_b32 vcc_lo, s0, s1
	s_mov_b32 s0, exec_lo
	v_subrev_co_ci_u32_e32 v13, vcc_lo, 0, v25, vcc_lo
	s_delay_alu instid0(VALU_DEP_2) | instskip(NEXT) | instid1(VALU_DEP_2)
	v_add_nc_u32_e32 v24, -1, v23
	v_and_b32_e32 v4, 0xfffff, v13
	s_delay_alu instid0(VALU_DEP_1) | instskip(SKIP_1) | instid1(VALU_DEP_4)
	v_add_co_u32 v12, vcc_lo, v4, v25
	v_add_co_ci_u32_e32 v13, vcc_lo, 0, v26, vcc_lo
                                        ; implicit-def: $vgpr4
	v_cmpx_ne_u32_e32 0, v24
	s_xor_b32 s0, exec_lo, s0
; %bb.70:
	s_delay_alu instid0(VALU_DEP_3) | instskip(SKIP_1) | instid1(VALU_DEP_2)
	v_and_b32_e32 v14, 0x1000000, v12
	v_bfe_u32 v4, v12, 24, 1
	v_cmp_eq_u64_e32 vcc_lo, 0, v[14:15]
	s_delay_alu instid0(VALU_DEP_2)
	v_lshrrev_b64 v[12:13], v4, v[12:13]
	v_cndmask_b32_e32 v4, v23, v24, vcc_lo
; %bb.71:
	s_and_not1_saveexec_b32 s0, s0
; %bb.72:
	s_delay_alu instid0(VALU_DEP_2)
	v_bfe_u32 v4, v12, 23, 1
; %bb.73:
	s_or_b32 exec_lo, exec_lo, s0
	s_delay_alu instid0(VALU_DEP_3) | instskip(NEXT) | instid1(VALU_DEP_2)
	v_lshrrev_b64 v[12:13], 20, v[12:13]
	v_cmp_gt_i32_e32 vcc_lo, 16, v4
	v_cmp_ne_u32_e64 s0, 0, v4
	s_delay_alu instid0(VALU_DEP_3) | instskip(NEXT) | instid1(VALU_DEP_1)
	v_dual_cndmask_b32 v13, 0, v13 :: v_dual_cndmask_b32 v12, 7, v12
	v_cmp_ne_u64_e32 vcc_lo, 0, v[12:13]
	s_delay_alu instid0(VALU_DEP_3) | instskip(NEXT) | instid1(SALU_CYCLE_1)
	s_or_b32 s1, s0, vcc_lo
	s_and_saveexec_b32 s0, s1
; %bb.74:
	v_min_i32_e32 v4, 15, v4
	v_and_b32_e32 v12, 7, v12
	s_delay_alu instid0(VALU_DEP_2) | instskip(NEXT) | instid1(VALU_DEP_1)
	v_lshlrev_b32_e32 v4, 3, v4
	v_and_b32_e32 v4, 0xf8, v4
	s_delay_alu instid0(VALU_DEP_1)
	v_or3_b32 v0, v4, v12, v0
; %bb.75:
	s_or_b32 exec_lo, exec_lo, s0
	s_delay_alu instid0(VALU_DEP_1)
	v_mov_b32_e32 v14, v0
.LBB0_76:
	s_or_b32 exec_lo, exec_lo, s8
.LBB0_77:
	s_delay_alu instid0(SALU_CYCLE_1)
	s_or_b32 exec_lo, exec_lo, s5
                                        ; implicit-def: $vgpr15
                                        ; implicit-def: $vgpr12_vgpr13
.LBB0_78:
	s_and_not1_saveexec_b32 s0, s4
; %bb.79:
	v_cmp_eq_u64_e32 vcc_lo, 0, v[12:13]
	v_or_b32_e32 v0, 0x7f, v15
	s_delay_alu instid0(VALU_DEP_1)
	v_cndmask_b32_e32 v14, v0, v14, vcc_lo
; %bb.80:
	s_or_b32 exec_lo, exec_lo, s0
	v_mul_f32_e32 v0, v22, v5
	s_mov_b32 s0, 0x43e00000
	s_delay_alu instid0(VALU_DEP_1) | instskip(NEXT) | instid1(VALU_DEP_1)
	v_dual_fmac_f32 v0, v21, v1 :: v_dual_mov_b32 v1, 0
	v_mul_f32_e32 v0, v18, v0
	s_delay_alu instid0(VALU_DEP_2) | instskip(NEXT) | instid1(VALU_DEP_2)
	v_mov_b32_e32 v24, v1
	v_minmax_f32 v4, v0, s0, 0xc3e00000
	s_mov_b32 s0, exec_lo
	s_delay_alu instid0(VALU_DEP_1) | instskip(SKIP_2) | instid1(VALU_DEP_3)
	v_lshrrev_b32_e32 v5, 24, v4
	v_and_b32_e32 v23, 0x7f800000, v4
	v_and_b32_e32 v0, 0x7fffff, v4
	;; [unrolled: 1-line block ×3, first 2 shown]
	s_delay_alu instid0(VALU_DEP_1) | instskip(NEXT) | instid1(VALU_DEP_4)
	v_or_b32_e32 v12, 0x7e, v13
	v_cmpx_ne_u64_e32 0x7f800000, v[23:24]
	s_xor_b32 s4, exec_lo, s0
	s_cbranch_execz .LBB0_92
; %bb.81:
	v_dual_mov_b32 v24, v1 :: v_dual_and_b32 v23, 0x7fffffff, v4
	s_mov_b32 s5, exec_lo
	s_delay_alu instid0(VALU_DEP_1)
	v_cmpx_gt_u64_e32 0x43e00001, v[23:24]
	s_cbranch_execz .LBB0_91
; %bb.82:
	v_mov_b32_e32 v12, 0
	s_mov_b32 s8, exec_lo
	v_cmpx_ne_u32_e32 0, v4
	s_cbranch_execz .LBB0_90
; %bb.83:
	v_bfe_u32 v12, v4, 23, 8
	s_delay_alu instid0(VALU_DEP_1) | instskip(SKIP_2) | instid1(VALU_DEP_3)
	v_sub_nc_u32_e64 v4, 0x79, v12 clamp
	v_cmp_eq_u32_e32 vcc_lo, 0, v12
	v_add_nc_u32_e32 v12, 0xffffff88, v12
	v_cndmask_b32_e64 v15, v4, 0x78, vcc_lo
	v_or_b32_e32 v4, 0x800000, v0
	s_delay_alu instid0(VALU_DEP_1) | instskip(SKIP_1) | instid1(VALU_DEP_2)
	v_dual_cndmask_b32 v0, v4, v0 :: v_dual_add_nc_u32 v5, 20, v15
	v_add_nc_u32_e32 v25, 19, v15
	v_lshlrev_b64 v[4:5], v5, -1
	s_delay_alu instid0(VALU_DEP_3) | instskip(NEXT) | instid1(VALU_DEP_3)
	v_lshrrev_b64 v[23:24], v15, v[0:1]
	v_lshlrev_b64 v[25:26], v25, 1
	s_delay_alu instid0(VALU_DEP_3) | instskip(NEXT) | instid1(VALU_DEP_4)
	v_not_b32_e32 v1, v5
	v_not_b32_e32 v27, v4
	s_delay_alu instid0(VALU_DEP_4) | instskip(NEXT) | instid1(VALU_DEP_3)
	v_dual_mov_b32 v5, 0 :: v_dual_and_b32 v4, 0x100000, v23
	v_and_b32_e32 v1, 0, v1
	s_delay_alu instid0(VALU_DEP_3) | instskip(NEXT) | instid1(VALU_DEP_3)
	v_and_b32_e32 v0, v0, v27
	v_cmp_eq_u64_e64 s0, 0, v[4:5]
	s_delay_alu instid0(VALU_DEP_2) | instskip(SKIP_2) | instid1(VALU_DEP_3)
	v_cmp_eq_u64_e64 s1, v[0:1], v[25:26]
	v_cndmask_b32_e64 v0, v12, 0xffffff89, vcc_lo
	v_lshrrev_b32_e32 v1, 23, v23
	s_and_b32 vcc_lo, s0, s1
	s_delay_alu instid0(VALU_DEP_1) | instskip(SKIP_2) | instid1(VALU_DEP_2)
	v_add3_u32 v12, v0, v15, v1
	v_subrev_co_ci_u32_e32 v4, vcc_lo, 0, v23, vcc_lo
	s_mov_b32 s0, exec_lo
	v_add_nc_u32_e32 v15, -1, v12
	s_delay_alu instid0(VALU_DEP_2) | instskip(NEXT) | instid1(VALU_DEP_1)
	v_and_b32_e32 v0, 0xfffff, v4
                                        ; implicit-def: $vgpr4
	v_add_co_u32 v0, vcc_lo, v0, v23
	v_add_co_ci_u32_e32 v1, vcc_lo, 0, v24, vcc_lo
	s_delay_alu instid0(VALU_DEP_4)
	v_cmpx_ne_u32_e32 0, v15
	s_xor_b32 s0, exec_lo, s0
; %bb.84:
	s_delay_alu instid0(VALU_DEP_3) | instskip(SKIP_1) | instid1(VALU_DEP_2)
	v_and_b32_e32 v4, 0x1000000, v0
	v_bfe_u32 v23, v0, 24, 1
	v_cmp_eq_u64_e32 vcc_lo, 0, v[4:5]
	s_delay_alu instid0(VALU_DEP_2)
	v_lshrrev_b64 v[0:1], v23, v[0:1]
	v_cndmask_b32_e32 v4, v12, v15, vcc_lo
; %bb.85:
	s_and_not1_saveexec_b32 s0, s0
; %bb.86:
	s_delay_alu instid0(VALU_DEP_2)
	v_bfe_u32 v4, v0, 23, 1
; %bb.87:
	s_or_b32 exec_lo, exec_lo, s0
	s_delay_alu instid0(VALU_DEP_3) | instskip(NEXT) | instid1(VALU_DEP_2)
	v_lshrrev_b64 v[0:1], 20, v[0:1]
	v_cmp_gt_i32_e32 vcc_lo, 16, v4
	v_cmp_ne_u32_e64 s0, 0, v4
	s_delay_alu instid0(VALU_DEP_3) | instskip(NEXT) | instid1(VALU_DEP_1)
	v_dual_cndmask_b32 v1, 0, v1 :: v_dual_cndmask_b32 v0, 7, v0
	v_cmp_ne_u64_e32 vcc_lo, 0, v[0:1]
	s_delay_alu instid0(VALU_DEP_3) | instskip(NEXT) | instid1(SALU_CYCLE_1)
	s_or_b32 s1, s0, vcc_lo
	s_and_saveexec_b32 s0, s1
; %bb.88:
	v_min_i32_e32 v1, 15, v4
	v_and_b32_e32 v0, 7, v0
	s_delay_alu instid0(VALU_DEP_2) | instskip(NEXT) | instid1(VALU_DEP_1)
	v_lshlrev_b32_e32 v1, 3, v1
	v_and_b32_e32 v1, 0xf8, v1
	s_delay_alu instid0(VALU_DEP_1)
	v_or3_b32 v13, v1, v0, v13
; %bb.89:
	s_or_b32 exec_lo, exec_lo, s0
	s_delay_alu instid0(VALU_DEP_1)
	v_mov_b32_e32 v12, v13
.LBB0_90:
	s_or_b32 exec_lo, exec_lo, s8
.LBB0_91:
	s_delay_alu instid0(SALU_CYCLE_1)
	s_or_b32 exec_lo, exec_lo, s5
                                        ; implicit-def: $vgpr5
                                        ; implicit-def: $vgpr0_vgpr1
.LBB0_92:
	s_and_not1_saveexec_b32 s0, s4
; %bb.93:
	v_cmp_eq_u64_e32 vcc_lo, 0, v[0:1]
	v_or_b32_e32 v4, 0x7f, v5
	s_delay_alu instid0(VALU_DEP_1)
	v_cndmask_b32_e32 v12, v4, v12, vcc_lo
; %bb.94:
	s_or_b32 exec_lo, exec_lo, s0
	v_dual_mul_f32 v0, v22, v6 :: v_dual_mov_b32 v1, 0
	s_mov_b32 s0, 0x43e00000
	s_delay_alu instid0(VALU_DEP_1) | instskip(NEXT) | instid1(VALU_DEP_2)
	v_fmac_f32_e32 v0, v21, v2
	v_mov_b32_e32 v24, v1
	s_delay_alu instid0(VALU_DEP_2) | instskip(NEXT) | instid1(VALU_DEP_1)
	v_mul_f32_e32 v0, v18, v0
	v_minmax_f32 v5, v0, s0, 0xc3e00000
	s_mov_b32 s0, exec_lo
	s_delay_alu instid0(VALU_DEP_1) | instskip(SKIP_2) | instid1(VALU_DEP_2)
	v_and_b32_e32 v23, 0x7f800000, v5
	v_lshrrev_b32_e32 v6, 24, v5
	v_and_b32_e32 v0, 0x7fffff, v5
	v_and_b32_e32 v2, 0x80, v6
	s_delay_alu instid0(VALU_DEP_1)
	v_or_b32_e32 v4, 0x7e, v2
	v_cmpx_ne_u64_e32 0x7f800000, v[23:24]
	s_xor_b32 s4, exec_lo, s0
	s_cbranch_execz .LBB0_106
; %bb.95:
	v_dual_mov_b32 v24, v1 :: v_dual_and_b32 v23, 0x7fffffff, v5
	s_mov_b32 s5, exec_lo
	s_delay_alu instid0(VALU_DEP_1)
	v_cmpx_gt_u64_e32 0x43e00001, v[23:24]
	s_cbranch_execz .LBB0_105
; %bb.96:
	v_mov_b32_e32 v4, 0
	s_mov_b32 s8, exec_lo
	v_cmpx_ne_u32_e32 0, v5
	s_cbranch_execz .LBB0_104
; %bb.97:
	v_bfe_u32 v6, v5, 23, 8
	s_delay_alu instid0(VALU_DEP_1) | instskip(SKIP_2) | instid1(VALU_DEP_3)
	v_sub_nc_u32_e64 v4, 0x79, v6 clamp
	v_cmp_eq_u32_e32 vcc_lo, 0, v6
	v_add_nc_u32_e32 v6, 0xffffff88, v6
	v_cndmask_b32_e64 v13, v4, 0x78, vcc_lo
	v_or_b32_e32 v4, 0x800000, v0
	s_delay_alu instid0(VALU_DEP_1) | instskip(SKIP_1) | instid1(VALU_DEP_2)
	v_dual_cndmask_b32 v0, v4, v0 :: v_dual_add_nc_u32 v5, 20, v13
	v_add_nc_u32_e32 v15, 19, v13
	v_lshlrev_b64 v[4:5], v5, -1
	s_delay_alu instid0(VALU_DEP_3) | instskip(NEXT) | instid1(VALU_DEP_3)
	v_lshrrev_b64 v[23:24], v13, v[0:1]
	v_lshlrev_b64 v[25:26], v15, 1
	s_delay_alu instid0(VALU_DEP_3) | instskip(NEXT) | instid1(VALU_DEP_4)
	v_not_b32_e32 v1, v5
	v_not_b32_e32 v27, v4
	s_delay_alu instid0(VALU_DEP_4) | instskip(NEXT) | instid1(VALU_DEP_3)
	v_dual_mov_b32 v5, 0 :: v_dual_and_b32 v4, 0x100000, v23
	v_and_b32_e32 v1, 0, v1
	s_delay_alu instid0(VALU_DEP_3) | instskip(NEXT) | instid1(VALU_DEP_3)
	v_and_b32_e32 v0, v0, v27
	v_cmp_eq_u64_e64 s0, 0, v[4:5]
	s_delay_alu instid0(VALU_DEP_2) | instskip(SKIP_2) | instid1(VALU_DEP_3)
	v_cmp_eq_u64_e64 s1, v[0:1], v[25:26]
	v_cndmask_b32_e64 v0, v6, 0xffffff89, vcc_lo
	v_lshrrev_b32_e32 v1, 23, v23
	s_and_b32 vcc_lo, s0, s1
	s_delay_alu instid0(VALU_DEP_1) | instskip(SKIP_2) | instid1(VALU_DEP_2)
	v_add3_u32 v6, v0, v13, v1
	v_subrev_co_ci_u32_e32 v4, vcc_lo, 0, v23, vcc_lo
	s_mov_b32 s0, exec_lo
	v_add_nc_u32_e32 v13, -1, v6
	s_delay_alu instid0(VALU_DEP_2) | instskip(NEXT) | instid1(VALU_DEP_1)
	v_and_b32_e32 v0, 0xfffff, v4
                                        ; implicit-def: $vgpr4
	v_add_co_u32 v0, vcc_lo, v0, v23
	v_add_co_ci_u32_e32 v1, vcc_lo, 0, v24, vcc_lo
	s_delay_alu instid0(VALU_DEP_4)
	v_cmpx_ne_u32_e32 0, v13
	s_xor_b32 s0, exec_lo, s0
; %bb.98:
	s_delay_alu instid0(VALU_DEP_3) | instskip(SKIP_1) | instid1(VALU_DEP_2)
	v_and_b32_e32 v4, 0x1000000, v0
	v_bfe_u32 v15, v0, 24, 1
	v_cmp_eq_u64_e32 vcc_lo, 0, v[4:5]
	s_delay_alu instid0(VALU_DEP_2)
	v_lshrrev_b64 v[0:1], v15, v[0:1]
	v_cndmask_b32_e32 v4, v6, v13, vcc_lo
; %bb.99:
	s_and_not1_saveexec_b32 s0, s0
; %bb.100:
	s_delay_alu instid0(VALU_DEP_2)
	v_bfe_u32 v4, v0, 23, 1
; %bb.101:
	s_or_b32 exec_lo, exec_lo, s0
	s_delay_alu instid0(VALU_DEP_3) | instskip(NEXT) | instid1(VALU_DEP_2)
	v_lshrrev_b64 v[0:1], 20, v[0:1]
	v_cmp_gt_i32_e32 vcc_lo, 16, v4
	v_cmp_ne_u32_e64 s0, 0, v4
	s_delay_alu instid0(VALU_DEP_3) | instskip(NEXT) | instid1(VALU_DEP_1)
	v_dual_cndmask_b32 v1, 0, v1 :: v_dual_cndmask_b32 v0, 7, v0
	v_cmp_ne_u64_e32 vcc_lo, 0, v[0:1]
	s_delay_alu instid0(VALU_DEP_3) | instskip(NEXT) | instid1(SALU_CYCLE_1)
	s_or_b32 s1, s0, vcc_lo
	s_and_saveexec_b32 s0, s1
; %bb.102:
	v_min_i32_e32 v1, 15, v4
	v_and_b32_e32 v0, 7, v0
	s_delay_alu instid0(VALU_DEP_2) | instskip(NEXT) | instid1(VALU_DEP_1)
	v_lshlrev_b32_e32 v1, 3, v1
	v_and_b32_e32 v1, 0xf8, v1
	s_delay_alu instid0(VALU_DEP_1)
	v_or3_b32 v2, v1, v0, v2
; %bb.103:
	s_or_b32 exec_lo, exec_lo, s0
	s_delay_alu instid0(VALU_DEP_1)
	v_mov_b32_e32 v4, v2
.LBB0_104:
	s_or_b32 exec_lo, exec_lo, s8
.LBB0_105:
	s_delay_alu instid0(SALU_CYCLE_1)
	s_or_b32 exec_lo, exec_lo, s5
                                        ; implicit-def: $vgpr6
                                        ; implicit-def: $vgpr0_vgpr1
.LBB0_106:
	s_and_not1_saveexec_b32 s0, s4
; %bb.107:
	v_cmp_eq_u64_e32 vcc_lo, 0, v[0:1]
	v_or_b32_e32 v2, 0x7f, v6
	s_delay_alu instid0(VALU_DEP_1)
	v_cndmask_b32_e32 v4, v2, v4, vcc_lo
; %bb.108:
	s_or_b32 exec_lo, exec_lo, s0
	v_dual_mul_f32 v0, v22, v7 :: v_dual_mov_b32 v1, 0
	s_mov_b32 s0, 0x43e00000
	s_delay_alu instid0(VALU_DEP_1) | instskip(NEXT) | instid1(VALU_DEP_2)
	v_fmac_f32_e32 v0, v21, v3
	v_mov_b32_e32 v22, v1
	s_delay_alu instid0(VALU_DEP_2) | instskip(NEXT) | instid1(VALU_DEP_1)
	v_mul_f32_e32 v0, v18, v0
	v_minmax_f32 v3, v0, s0, 0xc3e00000
	s_mov_b32 s0, exec_lo
	s_delay_alu instid0(VALU_DEP_1) | instskip(SKIP_2) | instid1(VALU_DEP_2)
	v_and_b32_e32 v21, 0x7f800000, v3
	v_lshrrev_b32_e32 v6, 24, v3
	v_and_b32_e32 v0, 0x7fffff, v3
	v_and_b32_e32 v5, 0x80, v6
	s_delay_alu instid0(VALU_DEP_1)
	v_or_b32_e32 v2, 0x7e, v5
	v_cmpx_ne_u64_e32 0x7f800000, v[21:22]
	s_xor_b32 s4, exec_lo, s0
	s_cbranch_execz .LBB0_120
; %bb.109:
	v_dual_mov_b32 v7, v1 :: v_dual_and_b32 v6, 0x7fffffff, v3
	s_mov_b32 s5, exec_lo
	s_delay_alu instid0(VALU_DEP_1)
	v_cmpx_gt_u64_e32 0x43e00001, v[6:7]
	s_cbranch_execz .LBB0_119
; %bb.110:
	v_mov_b32_e32 v2, 0
	s_mov_b32 s8, exec_lo
	v_cmpx_ne_u32_e32 0, v3
	s_cbranch_execz .LBB0_118
; %bb.111:
	v_bfe_u32 v13, v3, 23, 8
	s_delay_alu instid0(VALU_DEP_1) | instskip(SKIP_2) | instid1(VALU_DEP_3)
	v_sub_nc_u32_e64 v2, 0x79, v13 clamp
	v_cmp_eq_u32_e32 vcc_lo, 0, v13
	v_add_nc_u32_e32 v13, 0xffffff88, v13
	v_cndmask_b32_e64 v15, v2, 0x78, vcc_lo
	v_or_b32_e32 v2, 0x800000, v0
	s_delay_alu instid0(VALU_DEP_1) | instskip(SKIP_1) | instid1(VALU_DEP_2)
	v_dual_cndmask_b32 v0, v2, v0 :: v_dual_add_nc_u32 v3, 20, v15
	v_add_nc_u32_e32 v6, 19, v15
	v_lshlrev_b64 v[2:3], v3, -1
	s_delay_alu instid0(VALU_DEP_3) | instskip(NEXT) | instid1(VALU_DEP_2)
	v_lshrrev_b64 v[21:22], v15, v[0:1]
	v_not_b32_e32 v1, v3
	v_mov_b32_e32 v3, 0
	s_delay_alu instid0(VALU_DEP_4) | instskip(SKIP_3) | instid1(VALU_DEP_4)
	v_not_b32_e32 v18, v2
	v_lshlrev_b64 v[6:7], v6, 1
	v_and_b32_e32 v2, 0x100000, v21
	v_and_b32_e32 v1, 0, v1
	;; [unrolled: 1-line block ×3, first 2 shown]
	s_delay_alu instid0(VALU_DEP_3) | instskip(NEXT) | instid1(VALU_DEP_2)
	v_cmp_eq_u64_e64 s0, 0, v[2:3]
	v_cmp_eq_u64_e64 s1, v[0:1], v[6:7]
	v_cndmask_b32_e64 v0, v13, 0xffffff89, vcc_lo
	v_lshrrev_b32_e32 v1, 23, v21
	s_delay_alu instid0(VALU_DEP_3) | instskip(NEXT) | instid1(VALU_DEP_1)
	s_and_b32 vcc_lo, s0, s1
	v_add3_u32 v6, v0, v15, v1
	v_subrev_co_ci_u32_e32 v2, vcc_lo, 0, v21, vcc_lo
	s_mov_b32 s0, exec_lo
	s_delay_alu instid0(VALU_DEP_2) | instskip(NEXT) | instid1(VALU_DEP_2)
	v_add_nc_u32_e32 v7, -1, v6
	v_and_b32_e32 v0, 0xfffff, v2
                                        ; implicit-def: $vgpr2
	s_delay_alu instid0(VALU_DEP_1) | instskip(SKIP_1) | instid1(VALU_DEP_4)
	v_add_co_u32 v0, vcc_lo, v0, v21
	v_add_co_ci_u32_e32 v1, vcc_lo, 0, v22, vcc_lo
	v_cmpx_ne_u32_e32 0, v7
	s_xor_b32 s0, exec_lo, s0
; %bb.112:
	s_delay_alu instid0(VALU_DEP_3) | instskip(SKIP_1) | instid1(VALU_DEP_2)
	v_and_b32_e32 v2, 0x1000000, v0
	v_bfe_u32 v13, v0, 24, 1
	v_cmp_eq_u64_e32 vcc_lo, 0, v[2:3]
	s_delay_alu instid0(VALU_DEP_2)
	v_lshrrev_b64 v[0:1], v13, v[0:1]
	v_cndmask_b32_e32 v2, v6, v7, vcc_lo
; %bb.113:
	s_and_not1_saveexec_b32 s0, s0
; %bb.114:
	s_delay_alu instid0(VALU_DEP_2)
	v_bfe_u32 v2, v0, 23, 1
; %bb.115:
	s_or_b32 exec_lo, exec_lo, s0
	s_delay_alu instid0(VALU_DEP_3) | instskip(NEXT) | instid1(VALU_DEP_2)
	v_lshrrev_b64 v[0:1], 20, v[0:1]
	v_cmp_gt_i32_e32 vcc_lo, 16, v2
	v_cmp_ne_u32_e64 s0, 0, v2
	s_delay_alu instid0(VALU_DEP_3) | instskip(NEXT) | instid1(VALU_DEP_1)
	v_dual_cndmask_b32 v1, 0, v1 :: v_dual_cndmask_b32 v0, 7, v0
	v_cmp_ne_u64_e32 vcc_lo, 0, v[0:1]
	s_delay_alu instid0(VALU_DEP_3) | instskip(NEXT) | instid1(SALU_CYCLE_1)
	s_or_b32 s1, s0, vcc_lo
	s_and_saveexec_b32 s0, s1
; %bb.116:
	v_min_i32_e32 v1, 15, v2
	v_and_b32_e32 v0, 7, v0
	s_delay_alu instid0(VALU_DEP_2) | instskip(NEXT) | instid1(VALU_DEP_1)
	v_lshlrev_b32_e32 v1, 3, v1
	v_and_b32_e32 v1, 0xf8, v1
	s_delay_alu instid0(VALU_DEP_1)
	v_or3_b32 v5, v1, v0, v5
; %bb.117:
	s_or_b32 exec_lo, exec_lo, s0
	s_delay_alu instid0(VALU_DEP_1)
	v_mov_b32_e32 v2, v5
.LBB0_118:
	s_or_b32 exec_lo, exec_lo, s8
.LBB0_119:
	s_delay_alu instid0(SALU_CYCLE_1)
	s_or_b32 exec_lo, exec_lo, s5
                                        ; implicit-def: $vgpr6
                                        ; implicit-def: $vgpr0_vgpr1
.LBB0_120:
	s_and_not1_saveexec_b32 s0, s4
; %bb.121:
	v_cmp_eq_u64_e32 vcc_lo, 0, v[0:1]
	v_or_b32_e32 v3, 0x7f, v6
	s_delay_alu instid0(VALU_DEP_1)
	v_cndmask_b32_e32 v2, v3, v2, vcc_lo
; %bb.122:
	s_or_b32 exec_lo, exec_lo, s0
	v_lshlrev_b32_e32 v0, 16, v4
	v_lshlrev_b32_e32 v3, 8, v12
	s_delay_alu instid0(VALU_DEP_2) | instskip(SKIP_1) | instid1(VALU_DEP_2)
	v_lshl_or_b32 v2, v2, 24, v0
	v_lshlrev_b64 v[0:1], 2, v[8:9]
	v_or3_b32 v2, v2, v3, v14
	s_delay_alu instid0(VALU_DEP_2) | instskip(NEXT) | instid1(VALU_DEP_3)
	v_add_co_u32 v0, vcc_lo, v16, v0
	v_add_co_ci_u32_e32 v1, vcc_lo, v17, v1, vcc_lo
	global_store_b32 v[0:1], v2, off
.LBB0_123:
	s_or_b32 exec_lo, exec_lo, s3
	v_cmp_eq_u32_e32 vcc_lo, 0, v8
	s_cmp_lg_u64 s[6:7], 0
	s_cselect_b32 s0, -1, 0
	s_delay_alu instid0(SALU_CYCLE_1) | instskip(NEXT) | instid1(SALU_CYCLE_1)
	s_and_b32 s0, s0, vcc_lo
	s_and_saveexec_b32 s1, s0
	s_cbranch_execz .LBB0_125
; %bb.124:
	v_cmp_gt_f32_e32 vcc_lo, 0x800000, v20
	v_cndmask_b32_e64 v0, 1.0, 0x4f800000, vcc_lo
	s_delay_alu instid0(VALU_DEP_1) | instskip(NEXT) | instid1(VALU_DEP_1)
	v_mul_f32_e32 v0, v20, v0
	v_log_f32_e32 v0, v0
	s_waitcnt_depctr 0xfff
	v_mul_f32_e32 v1, 0x3f317217, v0
	v_cmp_gt_f32_e64 s0, 0x7f800000, |v0|
	s_delay_alu instid0(VALU_DEP_2) | instskip(NEXT) | instid1(VALU_DEP_1)
	v_fma_f32 v2, 0x3f317217, v0, -v1
	v_fmamk_f32 v2, v0, 0x3377d1cf, v2
	s_delay_alu instid0(VALU_DEP_1) | instskip(NEXT) | instid1(VALU_DEP_1)
	v_add_f32_e32 v1, v1, v2
	v_cndmask_b32_e64 v0, v0, v1, s0
	v_cndmask_b32_e64 v1, 0, 0x41b17218, vcc_lo
	s_delay_alu instid0(VALU_DEP_1) | instskip(SKIP_2) | instid1(VALU_DEP_3)
	v_sub_f32_e32 v2, v0, v1
	v_add_co_u32 v0, vcc_lo, s6, v10
	v_add_co_ci_u32_e32 v1, vcc_lo, s7, v11, vcc_lo
	v_add_f32_e32 v2, v19, v2
	global_store_b32 v[0:1], v2, off
.LBB0_125:
	s_or_b32 exec_lo, exec_lo, s1
                                        ; implicit-def: $vgpr19
                                        ; implicit-def: $vgpr10_vgpr11
                                        ; implicit-def: $vgpr0
                                        ; implicit-def: $vgpr1
                                        ; implicit-def: $vgpr8
                                        ; implicit-def: $vgpr5
                                        ; implicit-def: $vgpr18
                                        ; implicit-def: $vgpr16
                                        ; implicit-def: $vgpr17
.LBB0_126:
	s_and_not1_saveexec_b32 s0, s2
	s_cbranch_execz .LBB0_187
; %bb.127:
	s_mov_b32 s2, exec_lo
	v_cmpx_gt_u32_e64 s18, v5
	s_cbranch_execz .LBB0_185
; %bb.128:
	v_mov_b32_e32 v9, 0
	s_mov_b32 s0, 0x43e00000
	s_delay_alu instid0(VALU_DEP_1) | instskip(NEXT) | instid1(VALU_DEP_1)
	v_lshlrev_b64 v[2:3], 4, v[8:9]
	v_add_co_u32 v0, vcc_lo, v0, v2
	s_delay_alu instid0(VALU_DEP_2)
	v_add_co_ci_u32_e32 v1, vcc_lo, v1, v3, vcc_lo
	global_load_b128 v[0:3], v[0:1], off
	s_waitcnt vmcnt(0)
	v_mul_f32_e32 v0, v18, v0
	v_mov_b32_e32 v14, v9
	v_mov_b32_e32 v5, v9
	s_delay_alu instid0(VALU_DEP_3) | instskip(SKIP_1) | instid1(VALU_DEP_1)
	v_minmax_f32 v7, v0, s0, 0xc3e00000
	s_mov_b32 s0, exec_lo
	v_lshrrev_b32_e32 v12, 24, v7
	v_and_b32_e32 v13, 0x7f800000, v7
	v_and_b32_e32 v4, 0x7fffff, v7
	s_delay_alu instid0(VALU_DEP_3) | instskip(NEXT) | instid1(VALU_DEP_1)
	v_and_b32_e32 v0, 0x80, v12
	v_or_b32_e32 v6, 0x7e, v0
	s_delay_alu instid0(VALU_DEP_4)
	v_cmpx_ne_u64_e32 0x7f800000, v[13:14]
	s_xor_b32 s3, exec_lo, s0
	s_cbranch_execz .LBB0_140
; %bb.129:
	v_dual_mov_b32 v13, v9 :: v_dual_and_b32 v12, 0x7fffffff, v7
	s_mov_b32 s4, exec_lo
	s_delay_alu instid0(VALU_DEP_1)
	v_cmpx_gt_u64_e32 0x43e00001, v[12:13]
	s_cbranch_execz .LBB0_139
; %bb.130:
	v_mov_b32_e32 v6, 0
	s_mov_b32 s5, exec_lo
	v_cmpx_ne_u32_e32 0, v7
	s_cbranch_execz .LBB0_138
; %bb.131:
	v_bfe_u32 v20, v7, 23, 8
	s_delay_alu instid0(VALU_DEP_1) | instskip(SKIP_2) | instid1(VALU_DEP_3)
	v_sub_nc_u32_e64 v6, 0x79, v20 clamp
	v_cmp_eq_u32_e32 vcc_lo, 0, v20
	v_add_nc_u32_e32 v20, 0xffffff88, v20
	v_cndmask_b32_e64 v21, v6, 0x78, vcc_lo
	v_or_b32_e32 v6, 0x800000, v4
	s_delay_alu instid0(VALU_DEP_1) | instskip(SKIP_1) | instid1(VALU_DEP_2)
	v_dual_cndmask_b32 v4, v6, v4 :: v_dual_add_nc_u32 v7, 20, v21
	v_add_nc_u32_e32 v12, 19, v21
	v_lshlrev_b64 v[6:7], v7, -1
	s_delay_alu instid0(VALU_DEP_3) | instskip(NEXT) | instid1(VALU_DEP_2)
	v_lshrrev_b64 v[14:15], v21, v[4:5]
	v_not_b32_e32 v5, v7
	v_mov_b32_e32 v7, 0
	s_delay_alu instid0(VALU_DEP_4) | instskip(SKIP_3) | instid1(VALU_DEP_4)
	v_not_b32_e32 v22, v6
	v_lshlrev_b64 v[12:13], v12, 1
	v_and_b32_e32 v6, 0x100000, v14
	v_and_b32_e32 v5, 0, v5
	;; [unrolled: 1-line block ×3, first 2 shown]
	s_delay_alu instid0(VALU_DEP_3) | instskip(NEXT) | instid1(VALU_DEP_2)
	v_cmp_eq_u64_e64 s0, 0, v[6:7]
	v_cmp_eq_u64_e64 s1, v[4:5], v[12:13]
	v_cndmask_b32_e64 v4, v20, 0xffffff89, vcc_lo
	v_lshrrev_b32_e32 v5, 23, v14
	s_delay_alu instid0(VALU_DEP_3) | instskip(NEXT) | instid1(VALU_DEP_1)
	s_and_b32 vcc_lo, s0, s1
	v_add3_u32 v12, v4, v21, v5
	v_subrev_co_ci_u32_e32 v6, vcc_lo, 0, v14, vcc_lo
	s_mov_b32 s0, exec_lo
	s_delay_alu instid0(VALU_DEP_2) | instskip(NEXT) | instid1(VALU_DEP_2)
	v_add_nc_u32_e32 v13, -1, v12
	v_and_b32_e32 v4, 0xfffff, v6
                                        ; implicit-def: $vgpr6
	s_delay_alu instid0(VALU_DEP_1) | instskip(SKIP_1) | instid1(VALU_DEP_4)
	v_add_co_u32 v4, vcc_lo, v4, v14
	v_add_co_ci_u32_e32 v5, vcc_lo, 0, v15, vcc_lo
	v_cmpx_ne_u32_e32 0, v13
	s_xor_b32 s0, exec_lo, s0
; %bb.132:
	s_delay_alu instid0(VALU_DEP_3) | instskip(SKIP_1) | instid1(VALU_DEP_2)
	v_and_b32_e32 v6, 0x1000000, v4
	v_bfe_u32 v14, v4, 24, 1
	v_cmp_eq_u64_e32 vcc_lo, 0, v[6:7]
	s_delay_alu instid0(VALU_DEP_2)
	v_lshrrev_b64 v[4:5], v14, v[4:5]
	v_cndmask_b32_e32 v6, v12, v13, vcc_lo
; %bb.133:
	s_and_not1_saveexec_b32 s0, s0
; %bb.134:
	s_delay_alu instid0(VALU_DEP_2)
	v_bfe_u32 v6, v4, 23, 1
; %bb.135:
	s_or_b32 exec_lo, exec_lo, s0
	s_delay_alu instid0(VALU_DEP_3) | instskip(NEXT) | instid1(VALU_DEP_2)
	v_lshrrev_b64 v[4:5], 20, v[4:5]
	v_cmp_gt_i32_e32 vcc_lo, 16, v6
	v_cmp_ne_u32_e64 s0, 0, v6
	s_delay_alu instid0(VALU_DEP_3) | instskip(NEXT) | instid1(VALU_DEP_1)
	v_dual_cndmask_b32 v5, 0, v5 :: v_dual_cndmask_b32 v4, 7, v4
	v_cmp_ne_u64_e32 vcc_lo, 0, v[4:5]
	s_delay_alu instid0(VALU_DEP_3) | instskip(NEXT) | instid1(SALU_CYCLE_1)
	s_or_b32 s1, s0, vcc_lo
	s_and_saveexec_b32 s0, s1
; %bb.136:
	v_min_i32_e32 v5, 15, v6
	v_and_b32_e32 v4, 7, v4
	s_delay_alu instid0(VALU_DEP_2) | instskip(NEXT) | instid1(VALU_DEP_1)
	v_lshlrev_b32_e32 v5, 3, v5
	v_and_b32_e32 v5, 0xf8, v5
	s_delay_alu instid0(VALU_DEP_1)
	v_or3_b32 v0, v5, v4, v0
; %bb.137:
	s_or_b32 exec_lo, exec_lo, s0
	s_delay_alu instid0(VALU_DEP_1)
	v_mov_b32_e32 v6, v0
.LBB0_138:
	s_or_b32 exec_lo, exec_lo, s5
.LBB0_139:
	s_delay_alu instid0(SALU_CYCLE_1)
	s_or_b32 exec_lo, exec_lo, s4
                                        ; implicit-def: $vgpr12
                                        ; implicit-def: $vgpr4_vgpr5
.LBB0_140:
	s_and_not1_saveexec_b32 s0, s3
; %bb.141:
	v_cmp_eq_u64_e32 vcc_lo, 0, v[4:5]
	v_or_b32_e32 v0, 0x7f, v12
	s_delay_alu instid0(VALU_DEP_1)
	v_cndmask_b32_e32 v6, v0, v6, vcc_lo
; %bb.142:
	s_or_b32 exec_lo, exec_lo, s0
	v_dual_mul_f32 v0, v18, v1 :: v_dual_mov_b32 v1, 0
	s_mov_b32 s0, 0x43e00000
	s_delay_alu instid0(VALU_DEP_1) | instid1(SALU_CYCLE_1)
	v_minmax_f32 v4, v0, s0, 0xc3e00000
	s_mov_b32 s0, exec_lo
	s_delay_alu instid0(VALU_DEP_2) | instskip(NEXT) | instid1(VALU_DEP_2)
	v_mov_b32_e32 v14, v1
	v_lshrrev_b32_e32 v5, 24, v4
	v_and_b32_e32 v13, 0x7f800000, v4
	v_and_b32_e32 v0, 0x7fffff, v4
	s_delay_alu instid0(VALU_DEP_3) | instskip(NEXT) | instid1(VALU_DEP_1)
	v_and_b32_e32 v12, 0x80, v5
	v_or_b32_e32 v7, 0x7e, v12
	s_delay_alu instid0(VALU_DEP_4)
	v_cmpx_ne_u64_e32 0x7f800000, v[13:14]
	s_xor_b32 s3, exec_lo, s0
	s_cbranch_execz .LBB0_154
; %bb.143:
	v_dual_mov_b32 v14, v1 :: v_dual_and_b32 v13, 0x7fffffff, v4
	s_mov_b32 s4, exec_lo
	s_delay_alu instid0(VALU_DEP_1)
	v_cmpx_gt_u64_e32 0x43e00001, v[13:14]
	s_cbranch_execz .LBB0_153
; %bb.144:
	v_mov_b32_e32 v7, 0
	s_mov_b32 s5, exec_lo
	v_cmpx_ne_u32_e32 0, v4
	s_cbranch_execz .LBB0_152
; %bb.145:
	v_bfe_u32 v7, v4, 23, 8
	s_delay_alu instid0(VALU_DEP_1) | instskip(SKIP_2) | instid1(VALU_DEP_3)
	v_sub_nc_u32_e64 v4, 0x79, v7 clamp
	v_cmp_eq_u32_e32 vcc_lo, 0, v7
	v_add_nc_u32_e32 v7, 0xffffff88, v7
	v_cndmask_b32_e64 v13, v4, 0x78, vcc_lo
	v_or_b32_e32 v4, 0x800000, v0
	s_delay_alu instid0(VALU_DEP_1) | instskip(SKIP_1) | instid1(VALU_DEP_2)
	v_dual_cndmask_b32 v0, v4, v0 :: v_dual_add_nc_u32 v5, 20, v13
	v_add_nc_u32_e32 v20, 19, v13
	v_lshlrev_b64 v[4:5], v5, -1
	s_delay_alu instid0(VALU_DEP_3) | instskip(NEXT) | instid1(VALU_DEP_2)
	v_lshrrev_b64 v[14:15], v13, v[0:1]
	v_not_b32_e32 v1, v5
	v_mov_b32_e32 v5, 0
	s_delay_alu instid0(VALU_DEP_4) | instskip(SKIP_3) | instid1(VALU_DEP_4)
	v_not_b32_e32 v22, v4
	v_lshlrev_b64 v[20:21], v20, 1
	v_and_b32_e32 v4, 0x100000, v14
	v_and_b32_e32 v1, 0, v1
	;; [unrolled: 1-line block ×3, first 2 shown]
	s_delay_alu instid0(VALU_DEP_3) | instskip(NEXT) | instid1(VALU_DEP_2)
	v_cmp_eq_u64_e64 s0, 0, v[4:5]
	v_cmp_eq_u64_e64 s1, v[0:1], v[20:21]
	v_cndmask_b32_e64 v0, v7, 0xffffff89, vcc_lo
	v_lshrrev_b32_e32 v1, 23, v14
	s_delay_alu instid0(VALU_DEP_3) | instskip(NEXT) | instid1(VALU_DEP_1)
	s_and_b32 vcc_lo, s0, s1
	v_add3_u32 v7, v0, v13, v1
	v_subrev_co_ci_u32_e32 v4, vcc_lo, 0, v14, vcc_lo
	s_mov_b32 s0, exec_lo
	s_delay_alu instid0(VALU_DEP_2) | instskip(NEXT) | instid1(VALU_DEP_2)
	v_add_nc_u32_e32 v13, -1, v7
	v_and_b32_e32 v0, 0xfffff, v4
                                        ; implicit-def: $vgpr4
	s_delay_alu instid0(VALU_DEP_1) | instskip(SKIP_1) | instid1(VALU_DEP_4)
	v_add_co_u32 v0, vcc_lo, v0, v14
	v_add_co_ci_u32_e32 v1, vcc_lo, 0, v15, vcc_lo
	v_cmpx_ne_u32_e32 0, v13
	s_xor_b32 s0, exec_lo, s0
; %bb.146:
	s_delay_alu instid0(VALU_DEP_3) | instskip(SKIP_1) | instid1(VALU_DEP_2)
	v_and_b32_e32 v4, 0x1000000, v0
	v_bfe_u32 v14, v0, 24, 1
	v_cmp_eq_u64_e32 vcc_lo, 0, v[4:5]
	s_delay_alu instid0(VALU_DEP_2)
	v_lshrrev_b64 v[0:1], v14, v[0:1]
	v_cndmask_b32_e32 v4, v7, v13, vcc_lo
; %bb.147:
	s_and_not1_saveexec_b32 s0, s0
; %bb.148:
	s_delay_alu instid0(VALU_DEP_2)
	v_bfe_u32 v4, v0, 23, 1
; %bb.149:
	s_or_b32 exec_lo, exec_lo, s0
	s_delay_alu instid0(VALU_DEP_3) | instskip(NEXT) | instid1(VALU_DEP_2)
	v_lshrrev_b64 v[0:1], 20, v[0:1]
	v_cmp_gt_i32_e32 vcc_lo, 16, v4
	v_cmp_ne_u32_e64 s0, 0, v4
	s_delay_alu instid0(VALU_DEP_3) | instskip(NEXT) | instid1(VALU_DEP_1)
	v_dual_cndmask_b32 v1, 0, v1 :: v_dual_cndmask_b32 v0, 7, v0
	v_cmp_ne_u64_e32 vcc_lo, 0, v[0:1]
	s_delay_alu instid0(VALU_DEP_3) | instskip(NEXT) | instid1(SALU_CYCLE_1)
	s_or_b32 s1, s0, vcc_lo
	s_and_saveexec_b32 s0, s1
; %bb.150:
	v_min_i32_e32 v1, 15, v4
	v_and_b32_e32 v0, 7, v0
	s_delay_alu instid0(VALU_DEP_2) | instskip(NEXT) | instid1(VALU_DEP_1)
	v_lshlrev_b32_e32 v1, 3, v1
	v_and_b32_e32 v1, 0xf8, v1
	s_delay_alu instid0(VALU_DEP_1)
	v_or3_b32 v12, v1, v0, v12
; %bb.151:
	s_or_b32 exec_lo, exec_lo, s0
	s_delay_alu instid0(VALU_DEP_1)
	v_mov_b32_e32 v7, v12
.LBB0_152:
	s_or_b32 exec_lo, exec_lo, s5
.LBB0_153:
	s_delay_alu instid0(SALU_CYCLE_1)
	s_or_b32 exec_lo, exec_lo, s4
                                        ; implicit-def: $vgpr5
                                        ; implicit-def: $vgpr0_vgpr1
.LBB0_154:
	s_and_not1_saveexec_b32 s0, s3
; %bb.155:
	v_cmp_eq_u64_e32 vcc_lo, 0, v[0:1]
	v_or_b32_e32 v4, 0x7f, v5
	s_delay_alu instid0(VALU_DEP_1)
	v_cndmask_b32_e32 v7, v4, v7, vcc_lo
; %bb.156:
	s_or_b32 exec_lo, exec_lo, s0
	v_dual_mul_f32 v0, v18, v2 :: v_dual_mov_b32 v1, 0
	s_mov_b32 s0, 0x43e00000
	s_delay_alu instid0(VALU_DEP_1) | instid1(SALU_CYCLE_1)
	v_minmax_f32 v5, v0, s0, 0xc3e00000
	s_mov_b32 s0, exec_lo
	s_delay_alu instid0(VALU_DEP_2) | instskip(NEXT) | instid1(VALU_DEP_2)
	v_mov_b32_e32 v14, v1
	v_lshrrev_b32_e32 v12, 24, v5
	v_and_b32_e32 v13, 0x7f800000, v5
	v_and_b32_e32 v0, 0x7fffff, v5
	s_delay_alu instid0(VALU_DEP_3) | instskip(NEXT) | instid1(VALU_DEP_1)
	v_and_b32_e32 v2, 0x80, v12
	v_or_b32_e32 v4, 0x7e, v2
	s_delay_alu instid0(VALU_DEP_4)
	v_cmpx_ne_u64_e32 0x7f800000, v[13:14]
	s_xor_b32 s3, exec_lo, s0
	s_cbranch_execz .LBB0_168
; %bb.157:
	v_dual_mov_b32 v13, v1 :: v_dual_and_b32 v12, 0x7fffffff, v5
	s_mov_b32 s4, exec_lo
	s_delay_alu instid0(VALU_DEP_1)
	v_cmpx_gt_u64_e32 0x43e00001, v[12:13]
	s_cbranch_execz .LBB0_167
; %bb.158:
	v_mov_b32_e32 v4, 0
	s_mov_b32 s5, exec_lo
	v_cmpx_ne_u32_e32 0, v5
	s_cbranch_execz .LBB0_166
; %bb.159:
	v_bfe_u32 v20, v5, 23, 8
	s_delay_alu instid0(VALU_DEP_1) | instskip(SKIP_2) | instid1(VALU_DEP_3)
	v_sub_nc_u32_e64 v4, 0x79, v20 clamp
	v_cmp_eq_u32_e32 vcc_lo, 0, v20
	v_add_nc_u32_e32 v20, 0xffffff88, v20
	v_cndmask_b32_e64 v21, v4, 0x78, vcc_lo
	v_or_b32_e32 v4, 0x800000, v0
	s_delay_alu instid0(VALU_DEP_1) | instskip(SKIP_1) | instid1(VALU_DEP_2)
	v_dual_cndmask_b32 v0, v4, v0 :: v_dual_add_nc_u32 v5, 20, v21
	v_add_nc_u32_e32 v12, 19, v21
	v_lshlrev_b64 v[4:5], v5, -1
	s_delay_alu instid0(VALU_DEP_3) | instskip(NEXT) | instid1(VALU_DEP_2)
	v_lshrrev_b64 v[14:15], v21, v[0:1]
	v_not_b32_e32 v1, v5
	v_mov_b32_e32 v5, 0
	s_delay_alu instid0(VALU_DEP_4) | instskip(SKIP_3) | instid1(VALU_DEP_4)
	v_not_b32_e32 v22, v4
	v_lshlrev_b64 v[12:13], v12, 1
	v_and_b32_e32 v4, 0x100000, v14
	v_and_b32_e32 v1, 0, v1
	;; [unrolled: 1-line block ×3, first 2 shown]
	s_delay_alu instid0(VALU_DEP_3) | instskip(NEXT) | instid1(VALU_DEP_2)
	v_cmp_eq_u64_e64 s0, 0, v[4:5]
	v_cmp_eq_u64_e64 s1, v[0:1], v[12:13]
	v_cndmask_b32_e64 v0, v20, 0xffffff89, vcc_lo
	v_lshrrev_b32_e32 v1, 23, v14
	s_delay_alu instid0(VALU_DEP_3) | instskip(NEXT) | instid1(VALU_DEP_1)
	s_and_b32 vcc_lo, s0, s1
	v_add3_u32 v12, v0, v21, v1
	v_subrev_co_ci_u32_e32 v4, vcc_lo, 0, v14, vcc_lo
	s_mov_b32 s0, exec_lo
	s_delay_alu instid0(VALU_DEP_2) | instskip(NEXT) | instid1(VALU_DEP_2)
	v_add_nc_u32_e32 v13, -1, v12
	v_and_b32_e32 v0, 0xfffff, v4
                                        ; implicit-def: $vgpr4
	s_delay_alu instid0(VALU_DEP_1) | instskip(SKIP_1) | instid1(VALU_DEP_4)
	v_add_co_u32 v0, vcc_lo, v0, v14
	v_add_co_ci_u32_e32 v1, vcc_lo, 0, v15, vcc_lo
	v_cmpx_ne_u32_e32 0, v13
	s_xor_b32 s0, exec_lo, s0
; %bb.160:
	s_delay_alu instid0(VALU_DEP_3) | instskip(SKIP_1) | instid1(VALU_DEP_2)
	v_and_b32_e32 v4, 0x1000000, v0
	v_bfe_u32 v14, v0, 24, 1
	v_cmp_eq_u64_e32 vcc_lo, 0, v[4:5]
	s_delay_alu instid0(VALU_DEP_2)
	v_lshrrev_b64 v[0:1], v14, v[0:1]
	v_cndmask_b32_e32 v4, v12, v13, vcc_lo
; %bb.161:
	s_and_not1_saveexec_b32 s0, s0
; %bb.162:
	s_delay_alu instid0(VALU_DEP_2)
	v_bfe_u32 v4, v0, 23, 1
; %bb.163:
	s_or_b32 exec_lo, exec_lo, s0
	s_delay_alu instid0(VALU_DEP_3) | instskip(NEXT) | instid1(VALU_DEP_2)
	v_lshrrev_b64 v[0:1], 20, v[0:1]
	v_cmp_gt_i32_e32 vcc_lo, 16, v4
	v_cmp_ne_u32_e64 s0, 0, v4
	s_delay_alu instid0(VALU_DEP_3) | instskip(NEXT) | instid1(VALU_DEP_1)
	v_dual_cndmask_b32 v1, 0, v1 :: v_dual_cndmask_b32 v0, 7, v0
	v_cmp_ne_u64_e32 vcc_lo, 0, v[0:1]
	s_delay_alu instid0(VALU_DEP_3) | instskip(NEXT) | instid1(SALU_CYCLE_1)
	s_or_b32 s1, s0, vcc_lo
	s_and_saveexec_b32 s0, s1
; %bb.164:
	v_min_i32_e32 v1, 15, v4
	v_and_b32_e32 v0, 7, v0
	s_delay_alu instid0(VALU_DEP_2) | instskip(NEXT) | instid1(VALU_DEP_1)
	v_lshlrev_b32_e32 v1, 3, v1
	v_and_b32_e32 v1, 0xf8, v1
	s_delay_alu instid0(VALU_DEP_1)
	v_or3_b32 v2, v1, v0, v2
; %bb.165:
	s_or_b32 exec_lo, exec_lo, s0
	s_delay_alu instid0(VALU_DEP_1)
	v_mov_b32_e32 v4, v2
.LBB0_166:
	s_or_b32 exec_lo, exec_lo, s5
.LBB0_167:
	s_delay_alu instid0(SALU_CYCLE_1)
	s_or_b32 exec_lo, exec_lo, s4
                                        ; implicit-def: $vgpr12
                                        ; implicit-def: $vgpr0_vgpr1
.LBB0_168:
	s_and_not1_saveexec_b32 s0, s3
; %bb.169:
	v_cmp_eq_u64_e32 vcc_lo, 0, v[0:1]
	v_or_b32_e32 v2, 0x7f, v12
	s_delay_alu instid0(VALU_DEP_1)
	v_cndmask_b32_e32 v4, v2, v4, vcc_lo
; %bb.170:
	s_or_b32 exec_lo, exec_lo, s0
	v_dual_mul_f32 v0, v18, v3 :: v_dual_mov_b32 v1, 0
	s_mov_b32 s0, 0x43e00000
	s_delay_alu instid0(VALU_DEP_1) | instid1(SALU_CYCLE_1)
	v_minmax_f32 v3, v0, s0, 0xc3e00000
	s_mov_b32 s0, exec_lo
	s_delay_alu instid0(VALU_DEP_2) | instskip(NEXT) | instid1(VALU_DEP_2)
	v_mov_b32_e32 v14, v1
	v_lshrrev_b32_e32 v12, 24, v3
	v_and_b32_e32 v13, 0x7f800000, v3
	v_and_b32_e32 v0, 0x7fffff, v3
	s_delay_alu instid0(VALU_DEP_3) | instskip(NEXT) | instid1(VALU_DEP_1)
	v_and_b32_e32 v5, 0x80, v12
	v_or_b32_e32 v2, 0x7e, v5
	s_delay_alu instid0(VALU_DEP_4)
	v_cmpx_ne_u64_e32 0x7f800000, v[13:14]
	s_xor_b32 s3, exec_lo, s0
	s_cbranch_execz .LBB0_182
; %bb.171:
	v_dual_mov_b32 v13, v1 :: v_dual_and_b32 v12, 0x7fffffff, v3
	s_mov_b32 s4, exec_lo
	s_delay_alu instid0(VALU_DEP_1)
	v_cmpx_gt_u64_e32 0x43e00001, v[12:13]
	s_cbranch_execz .LBB0_181
; %bb.172:
	v_mov_b32_e32 v2, 0
	s_mov_b32 s5, exec_lo
	v_cmpx_ne_u32_e32 0, v3
	s_cbranch_execz .LBB0_180
; %bb.173:
	v_bfe_u32 v18, v3, 23, 8
	s_delay_alu instid0(VALU_DEP_1) | instskip(SKIP_2) | instid1(VALU_DEP_3)
	v_sub_nc_u32_e64 v2, 0x79, v18 clamp
	v_cmp_eq_u32_e32 vcc_lo, 0, v18
	v_add_nc_u32_e32 v18, 0xffffff88, v18
	v_cndmask_b32_e64 v20, v2, 0x78, vcc_lo
	v_or_b32_e32 v2, 0x800000, v0
	s_delay_alu instid0(VALU_DEP_2) | instskip(NEXT) | instid1(VALU_DEP_2)
	v_add_nc_u32_e32 v3, 20, v20
	v_cndmask_b32_e32 v0, v2, v0, vcc_lo
	v_add_nc_u32_e32 v12, 19, v20
	s_delay_alu instid0(VALU_DEP_3) | instskip(NEXT) | instid1(VALU_DEP_3)
	v_lshlrev_b64 v[2:3], v3, -1
	v_lshrrev_b64 v[14:15], v20, v[0:1]
	s_delay_alu instid0(VALU_DEP_3) | instskip(NEXT) | instid1(VALU_DEP_3)
	v_lshlrev_b64 v[12:13], v12, 1
	v_not_b32_e32 v1, v3
	v_mov_b32_e32 v3, 0
	v_not_b32_e32 v21, v2
	v_and_b32_e32 v2, 0x100000, v14
	s_delay_alu instid0(VALU_DEP_4) | instskip(NEXT) | instid1(VALU_DEP_3)
	v_and_b32_e32 v1, 0, v1
	v_and_b32_e32 v0, v0, v21
	s_delay_alu instid0(VALU_DEP_3) | instskip(NEXT) | instid1(VALU_DEP_2)
	v_cmp_eq_u64_e64 s0, 0, v[2:3]
	v_cmp_eq_u64_e64 s1, v[0:1], v[12:13]
	v_cndmask_b32_e64 v0, v18, 0xffffff89, vcc_lo
	v_lshrrev_b32_e32 v1, 23, v14
	s_delay_alu instid0(VALU_DEP_3) | instskip(NEXT) | instid1(VALU_DEP_1)
	s_and_b32 vcc_lo, s0, s1
	v_add3_u32 v12, v0, v20, v1
	v_subrev_co_ci_u32_e32 v2, vcc_lo, 0, v14, vcc_lo
	s_mov_b32 s0, exec_lo
	s_delay_alu instid0(VALU_DEP_2) | instskip(NEXT) | instid1(VALU_DEP_2)
	v_add_nc_u32_e32 v13, -1, v12
	v_and_b32_e32 v0, 0xfffff, v2
                                        ; implicit-def: $vgpr2
	s_delay_alu instid0(VALU_DEP_1) | instskip(SKIP_1) | instid1(VALU_DEP_4)
	v_add_co_u32 v0, vcc_lo, v0, v14
	v_add_co_ci_u32_e32 v1, vcc_lo, 0, v15, vcc_lo
	v_cmpx_ne_u32_e32 0, v13
	s_xor_b32 s0, exec_lo, s0
; %bb.174:
	s_delay_alu instid0(VALU_DEP_3) | instskip(SKIP_1) | instid1(VALU_DEP_2)
	v_and_b32_e32 v2, 0x1000000, v0
	v_bfe_u32 v14, v0, 24, 1
	v_cmp_eq_u64_e32 vcc_lo, 0, v[2:3]
	s_delay_alu instid0(VALU_DEP_2)
	v_lshrrev_b64 v[0:1], v14, v[0:1]
	v_cndmask_b32_e32 v2, v12, v13, vcc_lo
; %bb.175:
	s_and_not1_saveexec_b32 s0, s0
; %bb.176:
	s_delay_alu instid0(VALU_DEP_2)
	v_bfe_u32 v2, v0, 23, 1
; %bb.177:
	s_or_b32 exec_lo, exec_lo, s0
	s_delay_alu instid0(VALU_DEP_3) | instskip(NEXT) | instid1(VALU_DEP_2)
	v_lshrrev_b64 v[0:1], 20, v[0:1]
	v_cmp_gt_i32_e32 vcc_lo, 16, v2
	v_cmp_ne_u32_e64 s0, 0, v2
	s_delay_alu instid0(VALU_DEP_3) | instskip(NEXT) | instid1(VALU_DEP_1)
	v_dual_cndmask_b32 v1, 0, v1 :: v_dual_cndmask_b32 v0, 7, v0
	v_cmp_ne_u64_e32 vcc_lo, 0, v[0:1]
	s_delay_alu instid0(VALU_DEP_3) | instskip(NEXT) | instid1(SALU_CYCLE_1)
	s_or_b32 s1, s0, vcc_lo
	s_and_saveexec_b32 s0, s1
; %bb.178:
	v_min_i32_e32 v1, 15, v2
	v_and_b32_e32 v0, 7, v0
	s_delay_alu instid0(VALU_DEP_2) | instskip(NEXT) | instid1(VALU_DEP_1)
	v_lshlrev_b32_e32 v1, 3, v1
	v_and_b32_e32 v1, 0xf8, v1
	s_delay_alu instid0(VALU_DEP_1)
	v_or3_b32 v5, v1, v0, v5
; %bb.179:
	s_or_b32 exec_lo, exec_lo, s0
	s_delay_alu instid0(VALU_DEP_1)
	v_mov_b32_e32 v2, v5
.LBB0_180:
	s_or_b32 exec_lo, exec_lo, s5
.LBB0_181:
	s_delay_alu instid0(SALU_CYCLE_1)
	s_or_b32 exec_lo, exec_lo, s4
                                        ; implicit-def: $vgpr12
                                        ; implicit-def: $vgpr0_vgpr1
.LBB0_182:
	s_and_not1_saveexec_b32 s0, s3
; %bb.183:
	v_cmp_eq_u64_e32 vcc_lo, 0, v[0:1]
	v_or_b32_e32 v3, 0x7f, v12
	s_delay_alu instid0(VALU_DEP_1)
	v_cndmask_b32_e32 v2, v3, v2, vcc_lo
; %bb.184:
	s_or_b32 exec_lo, exec_lo, s0
	v_lshlrev_b32_e32 v0, 16, v4
	v_lshlrev_b32_e32 v3, 8, v7
	s_delay_alu instid0(VALU_DEP_2) | instskip(SKIP_1) | instid1(VALU_DEP_2)
	v_lshl_or_b32 v2, v2, 24, v0
	v_lshlrev_b64 v[0:1], 2, v[8:9]
	v_or3_b32 v2, v2, v3, v6
	s_delay_alu instid0(VALU_DEP_2) | instskip(NEXT) | instid1(VALU_DEP_3)
	v_add_co_u32 v0, vcc_lo, v16, v0
	v_add_co_ci_u32_e32 v1, vcc_lo, v17, v1, vcc_lo
	global_store_b32 v[0:1], v2, off
.LBB0_185:
	s_or_b32 exec_lo, exec_lo, s2
	v_cmp_eq_u32_e32 vcc_lo, 0, v8
	s_cmp_lg_u64 s[6:7], 0
	s_cselect_b32 s0, -1, 0
	s_delay_alu instid0(SALU_CYCLE_1) | instskip(NEXT) | instid1(SALU_CYCLE_1)
	s_and_b32 s0, s0, vcc_lo
	s_and_saveexec_b32 s1, s0
	s_cbranch_execz .LBB0_187
; %bb.186:
	v_add_co_u32 v0, vcc_lo, s6, v10
	v_add_co_ci_u32_e32 v1, vcc_lo, s7, v11, vcc_lo
	global_store_b32 v[0:1], v19, off
.LBB0_187:
	s_nop 0
	s_sendmsg sendmsg(MSG_DEALLOC_VGPRS)
	s_endpgm
	.section	.rodata,"a",@progbits
	.p2align	6, 0x0
	.amdhsa_kernel _ZN4vllm24merge_attn_states_kernelIfN3c1013Float8_e4m3fnELj128ELb1EEEvPT0_PfPKT_PKfS8_SA_jjjjjjSA_
		.amdhsa_group_segment_fixed_size 0
		.amdhsa_private_segment_fixed_size 0
		.amdhsa_kernarg_size 80
		.amdhsa_user_sgpr_count 15
		.amdhsa_user_sgpr_dispatch_ptr 0
		.amdhsa_user_sgpr_queue_ptr 0
		.amdhsa_user_sgpr_kernarg_segment_ptr 1
		.amdhsa_user_sgpr_dispatch_id 0
		.amdhsa_user_sgpr_private_segment_size 0
		.amdhsa_wavefront_size32 1
		.amdhsa_uses_dynamic_stack 0
		.amdhsa_enable_private_segment 0
		.amdhsa_system_sgpr_workgroup_id_x 1
		.amdhsa_system_sgpr_workgroup_id_y 0
		.amdhsa_system_sgpr_workgroup_id_z 0
		.amdhsa_system_sgpr_workgroup_info 0
		.amdhsa_system_vgpr_workitem_id 0
		.amdhsa_next_free_vgpr 29
		.amdhsa_next_free_sgpr 24
		.amdhsa_reserve_vcc 1
		.amdhsa_float_round_mode_32 0
		.amdhsa_float_round_mode_16_64 0
		.amdhsa_float_denorm_mode_32 3
		.amdhsa_float_denorm_mode_16_64 3
		.amdhsa_dx10_clamp 1
		.amdhsa_ieee_mode 1
		.amdhsa_fp16_overflow 0
		.amdhsa_workgroup_processor_mode 1
		.amdhsa_memory_ordered 1
		.amdhsa_forward_progress 0
		.amdhsa_shared_vgpr_count 0
		.amdhsa_exception_fp_ieee_invalid_op 0
		.amdhsa_exception_fp_denorm_src 0
		.amdhsa_exception_fp_ieee_div_zero 0
		.amdhsa_exception_fp_ieee_overflow 0
		.amdhsa_exception_fp_ieee_underflow 0
		.amdhsa_exception_fp_ieee_inexact 0
		.amdhsa_exception_int_div_zero 0
	.end_amdhsa_kernel
	.section	.text._ZN4vllm24merge_attn_states_kernelIfN3c1013Float8_e4m3fnELj128ELb1EEEvPT0_PfPKT_PKfS8_SA_jjjjjjSA_,"axG",@progbits,_ZN4vllm24merge_attn_states_kernelIfN3c1013Float8_e4m3fnELj128ELb1EEEvPT0_PfPKT_PKfS8_SA_jjjjjjSA_,comdat
.Lfunc_end0:
	.size	_ZN4vllm24merge_attn_states_kernelIfN3c1013Float8_e4m3fnELj128ELb1EEEvPT0_PfPKT_PKfS8_SA_jjjjjjSA_, .Lfunc_end0-_ZN4vllm24merge_attn_states_kernelIfN3c1013Float8_e4m3fnELj128ELb1EEEvPT0_PfPKT_PKfS8_SA_jjjjjjSA_
                                        ; -- End function
	.section	.AMDGPU.csdata,"",@progbits
; Kernel info:
; codeLenInByte = 8956
; NumSgprs: 26
; NumVgprs: 29
; ScratchSize: 0
; MemoryBound: 0
; FloatMode: 240
; IeeeMode: 1
; LDSByteSize: 0 bytes/workgroup (compile time only)
; SGPRBlocks: 3
; VGPRBlocks: 3
; NumSGPRsForWavesPerEU: 26
; NumVGPRsForWavesPerEU: 29
; Occupancy: 16
; WaveLimiterHint : 0
; COMPUTE_PGM_RSRC2:SCRATCH_EN: 0
; COMPUTE_PGM_RSRC2:USER_SGPR: 15
; COMPUTE_PGM_RSRC2:TRAP_HANDLER: 0
; COMPUTE_PGM_RSRC2:TGID_X_EN: 1
; COMPUTE_PGM_RSRC2:TGID_Y_EN: 0
; COMPUTE_PGM_RSRC2:TGID_Z_EN: 0
; COMPUTE_PGM_RSRC2:TIDIG_COMP_CNT: 0
	.section	.text._ZN4vllm24merge_attn_states_kernelIfN3c1015Float8_e4m3fnuzELj128ELb1EEEvPT0_PfPKT_PKfS8_SA_jjjjjjSA_,"axG",@progbits,_ZN4vllm24merge_attn_states_kernelIfN3c1015Float8_e4m3fnuzELj128ELb1EEEvPT0_PfPKT_PKfS8_SA_jjjjjjSA_,comdat
	.protected	_ZN4vllm24merge_attn_states_kernelIfN3c1015Float8_e4m3fnuzELj128ELb1EEEvPT0_PfPKT_PKfS8_SA_jjjjjjSA_ ; -- Begin function _ZN4vllm24merge_attn_states_kernelIfN3c1015Float8_e4m3fnuzELj128ELb1EEEvPT0_PfPKT_PKfS8_SA_jjjjjjSA_
	.globl	_ZN4vllm24merge_attn_states_kernelIfN3c1015Float8_e4m3fnuzELj128ELb1EEEvPT0_PfPKT_PKfS8_SA_jjjjjjSA_
	.p2align	8
	.type	_ZN4vllm24merge_attn_states_kernelIfN3c1015Float8_e4m3fnuzELj128ELb1EEEvPT0_PfPKT_PKfS8_SA_jjjjjjSA_,@function
_ZN4vllm24merge_attn_states_kernelIfN3c1015Float8_e4m3fnuzELj128ELb1EEEvPT0_PfPKT_PKfS8_SA_jjjjjjSA_: ; @_ZN4vllm24merge_attn_states_kernelIfN3c1015Float8_e4m3fnuzELj128ELb1EEEvPT0_PfPKT_PKfS8_SA_jjjjjjSA_
; %bb.0:
	s_load_b128 s[16:19], s[0:1], 0x30
	v_lshl_add_u32 v0, s15, 7, v0
	s_waitcnt lgkmcnt(0)
	s_lshr_b32 s2, s18, 2
	s_mul_i32 s3, s17, s16
	s_delay_alu instid0(SALU_CYCLE_1) | instskip(NEXT) | instid1(SALU_CYCLE_1)
	s_mul_i32 s3, s3, s2
	v_cmp_gt_u32_e32 vcc_lo, s3, v0
	s_and_saveexec_b32 s3, vcc_lo
	s_cbranch_execz .LBB1_115
; %bb.1:
	v_cvt_f32_u32_e32 v1, s2
	v_cvt_f32_u32_e32 v3, s17
	s_sub_i32 s3, 0, s2
	s_clause 0x1
	s_load_b128 s[20:23], s[0:1], 0x40
	s_load_b128 s[12:15], s[0:1], 0x20
	v_rcp_iflag_f32_e32 v1, v1
	v_rcp_iflag_f32_e32 v3, v3
	s_sub_i32 s4, 0, s17
	s_waitcnt_depctr 0xfff
	v_mul_f32_e32 v1, 0x4f7ffffe, v1
	s_delay_alu instid0(VALU_DEP_1) | instskip(NEXT) | instid1(VALU_DEP_1)
	v_cvt_u32_f32_e32 v1, v1
	v_mul_lo_u32 v2, s3, v1
	s_waitcnt lgkmcnt(0)
	s_load_b32 s3, s[22:23], 0x0
	s_delay_alu instid0(VALU_DEP_1) | instskip(NEXT) | instid1(VALU_DEP_1)
	v_mul_hi_u32 v2, v1, v2
	v_dual_mul_f32 v2, 0x4f7ffffe, v3 :: v_dual_add_nc_u32 v1, v1, v2
	s_waitcnt lgkmcnt(0)
	v_div_scale_f32 v6, null, s3, s3, 1.0
	s_delay_alu instid0(VALU_DEP_2) | instskip(NEXT) | instid1(VALU_DEP_3)
	v_mul_hi_u32 v1, v0, v1
	v_cvt_u32_f32_e32 v2, v2
	s_delay_alu instid0(VALU_DEP_1) | instskip(SKIP_1) | instid1(VALU_DEP_3)
	v_mul_lo_u32 v4, s4, v2
	s_load_b256 s[4:11], s[0:1], 0x0
	v_mul_lo_u32 v3, v1, s2
	v_add_nc_u32_e32 v5, 1, v1
	s_delay_alu instid0(VALU_DEP_3) | instskip(NEXT) | instid1(VALU_DEP_3)
	v_mul_hi_u32 v4, v2, v4
	v_sub_nc_u32_e32 v3, v0, v3
	s_delay_alu instid0(VALU_DEP_1) | instskip(SKIP_1) | instid1(VALU_DEP_4)
	v_subrev_nc_u32_e32 v7, s2, v3
	v_cmp_le_u32_e32 vcc_lo, s2, v3
	v_dual_cndmask_b32 v1, v1, v5 :: v_dual_add_nc_u32 v2, v2, v4
	s_delay_alu instid0(VALU_DEP_3) | instskip(SKIP_1) | instid1(VALU_DEP_2)
	v_cndmask_b32_e32 v3, v3, v7, vcc_lo
	v_rcp_f32_e32 v5, v6
	v_add_nc_u32_e32 v7, 1, v1
	s_delay_alu instid0(VALU_DEP_2) | instskip(NEXT) | instid1(VALU_DEP_2)
	v_cmp_le_u32_e32 vcc_lo, s2, v3
	v_cndmask_b32_e32 v7, v1, v7, vcc_lo
	s_waitcnt_depctr 0xfff
	v_fma_f32 v1, -v6, v5, 1.0
	v_div_scale_f32 v3, vcc_lo, 1.0, s3, 1.0
	v_mul_hi_u32 v2, v7, v2
	s_delay_alu instid0(VALU_DEP_3) | instskip(NEXT) | instid1(VALU_DEP_1)
	v_fmac_f32_e32 v5, v1, v5
	v_mul_f32_e32 v8, v3, v5
	s_delay_alu instid0(VALU_DEP_3) | instskip(SKIP_1) | instid1(VALU_DEP_3)
	v_mul_lo_u32 v1, v2, s17
	v_add_nc_u32_e32 v9, 1, v2
	v_fma_f32 v4, -v6, v8, v3
	s_delay_alu instid0(VALU_DEP_3) | instskip(NEXT) | instid1(VALU_DEP_2)
	v_sub_nc_u32_e32 v1, v7, v1
	v_fmac_f32_e32 v8, v4, v5
	s_delay_alu instid0(VALU_DEP_2) | instskip(SKIP_1) | instid1(VALU_DEP_3)
	v_subrev_nc_u32_e32 v4, s17, v1
	v_cmp_le_u32_e64 s0, s17, v1
	v_fma_f32 v3, -v6, v8, v3
	s_delay_alu instid0(VALU_DEP_2) | instskip(NEXT) | instid1(VALU_DEP_4)
	v_cndmask_b32_e64 v9, v2, v9, s0
	v_cndmask_b32_e64 v4, v1, v4, s0
	v_mov_b32_e32 v2, 0
	s_delay_alu instid0(VALU_DEP_4) | instskip(NEXT) | instid1(VALU_DEP_4)
	v_div_fmas_f32 v3, v3, v5, v8
	v_add_nc_u32_e32 v6, 1, v9
	s_delay_alu instid0(VALU_DEP_4)
	v_cmp_le_u32_e64 s0, s17, v4
	v_mul_lo_u32 v10, v7, s2
	v_mul_lo_u32 v1, v7, s19
	;; [unrolled: 1-line block ×3, first 2 shown]
	v_div_fixup_f32 v18, v3, s3, 1.0
	v_cndmask_b32_e64 v4, v9, v6, s0
	v_sub_nc_u32_e32 v8, v0, v10
	v_lshlrev_b64 v[0:1], 2, v[1:2]
	s_delay_alu instid0(VALU_DEP_3) | instskip(SKIP_2) | instid1(VALU_DEP_1)
	v_mul_lo_u32 v6, v4, s17
	s_waitcnt lgkmcnt(0)
	v_add_co_u32 v16, s0, s4, v11
	v_add_co_ci_u32_e64 v17, null, s5, 0, s0
	s_delay_alu instid0(VALU_DEP_4)
	v_add_co_u32 v2, vcc_lo, s12, v0
	v_lshlrev_b32_e32 v5, 2, v8
	v_add_co_ci_u32_e32 v3, vcc_lo, s13, v1, vcc_lo
	v_sub_nc_u32_e32 v7, v7, v6
	s_mov_b32 s0, exec_lo
	v_cmpx_le_u32_e64 s21, v4
	s_xor_b32 s2, exec_lo, s0
	s_cbranch_execz .LBB1_39
; %bb.2:
	s_mov_b32 s3, exec_lo
	v_cmpx_gt_u32_e64 s18, v5
	s_cbranch_execz .LBB1_36
; %bb.3:
	v_mov_b32_e32 v9, 0
	s_mov_b32 s4, 0x43600000
	s_delay_alu instid0(VALU_DEP_1) | instskip(NEXT) | instid1(VALU_DEP_1)
	v_lshlrev_b64 v[0:1], 4, v[8:9]
	v_add_co_u32 v0, vcc_lo, v2, v0
	s_delay_alu instid0(VALU_DEP_2) | instskip(SKIP_3) | instid1(VALU_DEP_1)
	v_add_co_ci_u32_e32 v1, vcc_lo, v3, v1, vcc_lo
	global_load_b128 v[0:3], v[0:1], off
	s_waitcnt vmcnt(0)
	v_mul_f32_e32 v0, v18, v0
	v_minmax_f32 v5, v0, s4, 0xc3600000
	v_mov_b32_e32 v11, v9
	s_delay_alu instid0(VALU_DEP_2) | instskip(SKIP_2) | instid1(VALU_DEP_3)
	v_dual_mov_b32 v13, v9 :: v_dual_and_b32 v12, 0x7fffffff, v5
	v_and_b32_e32 v10, 0x7f800000, v5
	v_lshrrev_b32_e32 v0, 24, v5
	v_cmp_gt_u64_e64 s0, 0x43700001, v[12:13]
	s_delay_alu instid0(VALU_DEP_3) | instskip(NEXT) | instid1(VALU_DEP_3)
	v_cmp_ne_u64_e32 vcc_lo, 0x7f800000, v[10:11]
	v_or_b32_e32 v12, 0x7f, v0
	s_delay_alu instid0(VALU_DEP_3) | instskip(NEXT) | instid1(SALU_CYCLE_1)
	s_and_b32 s0, vcc_lo, s0
	s_and_saveexec_b32 s5, s0
	s_cbranch_execz .LBB1_11
; %bb.4:
	v_mov_b32_e32 v12, v9
	s_mov_b32 s12, exec_lo
	v_cmpx_ne_u32_e32 0, v5
	s_cbranch_execz .LBB1_10
; %bb.5:
	v_bfe_u32 v19, v5, 23, 8
	v_and_b32_e32 v5, 0x7fffff, v5
	s_delay_alu instid0(VALU_DEP_2) | instskip(SKIP_2) | instid1(VALU_DEP_3)
	v_sub_nc_u32_e64 v6, 0x78, v19 clamp
	v_cmp_eq_u32_e32 vcc_lo, 0, v19
	v_add_nc_u32_e32 v19, 0xffffff89, v19
	v_cndmask_b32_e64 v20, v6, 0x77, vcc_lo
	v_mov_b32_e32 v6, 0
	v_or_b32_e32 v10, 0x800000, v5
	s_delay_alu instid0(VALU_DEP_3) | instskip(NEXT) | instid1(VALU_DEP_2)
	v_add_nc_u32_e32 v11, 20, v20
	v_dual_cndmask_b32 v5, v10, v5 :: v_dual_add_nc_u32 v12, 19, v20
	s_delay_alu instid0(VALU_DEP_2) | instskip(NEXT) | instid1(VALU_DEP_2)
	v_lshlrev_b64 v[10:11], v11, -1
	v_lshlrev_b64 v[12:13], v12, 1
	s_delay_alu instid0(VALU_DEP_3) | instskip(NEXT) | instid1(VALU_DEP_3)
	v_lshrrev_b64 v[14:15], v20, v[5:6]
	v_not_b32_e32 v10, v10
	s_delay_alu instid0(VALU_DEP_1) | instskip(NEXT) | instid1(VALU_DEP_3)
	v_dual_mov_b32 v11, v6 :: v_dual_and_b32 v10, v5, v10
	v_and_b32_e32 v5, 0x100000, v14
	s_delay_alu instid0(VALU_DEP_2) | instskip(NEXT) | instid1(VALU_DEP_2)
	v_cmp_eq_u64_e64 s0, v[10:11], v[12:13]
	v_cmp_eq_u64_e64 s1, 0, v[5:6]
	v_cndmask_b32_e64 v5, v19, 0xffffff8a, vcc_lo
	v_lshrrev_b32_e32 v10, 23, v14
	s_delay_alu instid0(VALU_DEP_3) | instskip(NEXT) | instid1(VALU_DEP_1)
	s_and_b32 vcc_lo, s1, s0
	v_add3_u32 v12, v5, v20, v10
	v_subrev_co_ci_u32_e32 v11, vcc_lo, 0, v14, vcc_lo
	s_mov_b32 s0, exec_lo
	s_delay_alu instid0(VALU_DEP_2) | instskip(NEXT) | instid1(VALU_DEP_2)
	v_add_nc_u32_e32 v13, -1, v12
	v_and_b32_e32 v5, 0xfffff, v11
	s_delay_alu instid0(VALU_DEP_1) | instskip(SKIP_1) | instid1(VALU_DEP_4)
	v_add_co_u32 v10, vcc_lo, v5, v14
	v_add_co_ci_u32_e32 v11, vcc_lo, 0, v15, vcc_lo
                                        ; implicit-def: $vgpr5
	v_cmpx_ne_u32_e32 0, v13
	s_xor_b32 s0, exec_lo, s0
; %bb.6:
	s_delay_alu instid0(VALU_DEP_3) | instskip(SKIP_1) | instid1(VALU_DEP_2)
	v_and_b32_e32 v5, 0x1000000, v10
	v_bfe_u32 v14, v10, 24, 1
	v_cmp_eq_u64_e32 vcc_lo, 0, v[5:6]
	s_delay_alu instid0(VALU_DEP_2)
	v_lshrrev_b64 v[10:11], v14, v[10:11]
	v_cndmask_b32_e32 v5, v12, v13, vcc_lo
; %bb.7:
	s_and_not1_saveexec_b32 s0, s0
; %bb.8:
	s_delay_alu instid0(VALU_DEP_2)
	v_bfe_u32 v5, v10, 23, 1
; %bb.9:
	s_or_b32 exec_lo, exec_lo, s0
	s_delay_alu instid0(VALU_DEP_1) | instskip(SKIP_4) | instid1(VALU_DEP_4)
	v_min_i32_e32 v6, 15, v5
	v_lshrrev_b64 v[10:11], 20, v[10:11]
	v_cmp_gt_i32_e32 vcc_lo, 16, v5
	v_and_b32_e32 v0, 0x80, v0
	v_cmp_eq_u32_e64 s0, 0, v5
	v_dual_cndmask_b32 v11, 0, v11 :: v_dual_lshlrev_b32 v6, 3, v6
	v_cndmask_b32_e32 v10, 7, v10, vcc_lo
	s_delay_alu instid0(VALU_DEP_2) | instskip(NEXT) | instid1(VALU_DEP_2)
	v_and_or_b32 v0, 0xf8, v6, v0
	v_cmp_eq_u64_e32 vcc_lo, 0, v[10:11]
	s_delay_alu instid0(VALU_DEP_2)
	v_and_or_b32 v0, v10, 7, v0
	s_and_b32 s0, s0, vcc_lo
	s_delay_alu instid0(VALU_DEP_1) | instid1(SALU_CYCLE_1)
	v_cndmask_b32_e64 v12, v0, 0, s0
.LBB1_10:
	s_or_b32 exec_lo, exec_lo, s12
.LBB1_11:
	s_delay_alu instid0(SALU_CYCLE_1) | instskip(SKIP_1) | instid1(VALU_DEP_1)
	s_or_b32 exec_lo, exec_lo, s5
	v_mul_f32_e32 v0, v18, v1
	v_minmax_f32 v0, v0, s4, 0xc3600000
	v_mov_b32_e32 v6, v9
	s_delay_alu instid0(VALU_DEP_2) | instskip(SKIP_2) | instid1(VALU_DEP_3)
	v_dual_mov_b32 v14, v9 :: v_dual_and_b32 v13, 0x7fffffff, v0
	v_and_b32_e32 v5, 0x7f800000, v0
	v_lshrrev_b32_e32 v10, 24, v0
	v_cmp_gt_u64_e64 s0, 0x43700001, v[13:14]
	s_delay_alu instid0(VALU_DEP_3) | instskip(NEXT) | instid1(VALU_DEP_3)
	v_cmp_ne_u64_e32 vcc_lo, 0x7f800000, v[5:6]
	v_or_b32_e32 v13, 0x7f, v10
	s_delay_alu instid0(VALU_DEP_3) | instskip(NEXT) | instid1(SALU_CYCLE_1)
	s_and_b32 s0, vcc_lo, s0
	s_and_saveexec_b32 s4, s0
	s_cbranch_execz .LBB1_19
; %bb.12:
	v_mov_b32_e32 v13, 0
	s_mov_b32 s5, exec_lo
	v_cmpx_ne_u32_e32 0, v0
	s_cbranch_execz .LBB1_18
; %bb.13:
	v_bfe_u32 v11, v0, 23, 8
	v_and_b32_e32 v0, 0x7fffff, v0
	s_delay_alu instid0(VALU_DEP_2) | instskip(SKIP_2) | instid1(VALU_DEP_3)
	v_sub_nc_u32_e64 v1, 0x78, v11 clamp
	v_cmp_eq_u32_e32 vcc_lo, 0, v11
	v_add_nc_u32_e32 v11, 0xffffff89, v11
	v_cndmask_b32_e64 v13, v1, 0x77, vcc_lo
	v_mov_b32_e32 v1, 0
	v_or_b32_e32 v5, 0x800000, v0
	s_delay_alu instid0(VALU_DEP_3) | instskip(NEXT) | instid1(VALU_DEP_2)
	v_add_nc_u32_e32 v6, 20, v13
	v_dual_cndmask_b32 v0, v5, v0 :: v_dual_add_nc_u32 v19, 19, v13
	s_delay_alu instid0(VALU_DEP_2) | instskip(NEXT) | instid1(VALU_DEP_2)
	v_lshlrev_b64 v[5:6], v6, -1
	v_lshlrev_b64 v[19:20], v19, 1
	s_delay_alu instid0(VALU_DEP_3) | instskip(NEXT) | instid1(VALU_DEP_3)
	v_lshrrev_b64 v[14:15], v13, v[0:1]
	v_not_b32_e32 v5, v5
	s_delay_alu instid0(VALU_DEP_1) | instskip(NEXT) | instid1(VALU_DEP_3)
	v_dual_mov_b32 v6, v1 :: v_dual_and_b32 v5, v0, v5
	v_and_b32_e32 v0, 0x100000, v14
	s_delay_alu instid0(VALU_DEP_2) | instskip(NEXT) | instid1(VALU_DEP_2)
	v_cmp_eq_u64_e64 s0, v[5:6], v[19:20]
	v_cmp_eq_u64_e64 s1, 0, v[0:1]
	v_cndmask_b32_e64 v0, v11, 0xffffff8a, vcc_lo
	v_lshrrev_b32_e32 v5, 23, v14
	s_delay_alu instid0(VALU_DEP_3) | instskip(NEXT) | instid1(VALU_DEP_1)
	s_and_b32 vcc_lo, s1, s0
	v_add3_u32 v11, v0, v13, v5
	v_subrev_co_ci_u32_e32 v6, vcc_lo, 0, v14, vcc_lo
	s_mov_b32 s0, exec_lo
	s_delay_alu instid0(VALU_DEP_2) | instskip(NEXT) | instid1(VALU_DEP_2)
	v_add_nc_u32_e32 v13, -1, v11
	v_and_b32_e32 v0, 0xfffff, v6
	s_delay_alu instid0(VALU_DEP_1) | instskip(SKIP_1) | instid1(VALU_DEP_4)
	v_add_co_u32 v5, vcc_lo, v0, v14
	v_add_co_ci_u32_e32 v6, vcc_lo, 0, v15, vcc_lo
                                        ; implicit-def: $vgpr0
	v_cmpx_ne_u32_e32 0, v13
	s_xor_b32 s0, exec_lo, s0
; %bb.14:
	s_delay_alu instid0(VALU_DEP_3) | instskip(SKIP_1) | instid1(VALU_DEP_2)
	v_and_b32_e32 v0, 0x1000000, v5
	v_bfe_u32 v14, v5, 24, 1
	v_cmp_eq_u64_e32 vcc_lo, 0, v[0:1]
	s_delay_alu instid0(VALU_DEP_2)
	v_lshrrev_b64 v[5:6], v14, v[5:6]
	v_cndmask_b32_e32 v0, v11, v13, vcc_lo
; %bb.15:
	s_and_not1_saveexec_b32 s0, s0
; %bb.16:
	s_delay_alu instid0(VALU_DEP_2)
	v_bfe_u32 v0, v5, 23, 1
; %bb.17:
	s_or_b32 exec_lo, exec_lo, s0
	s_delay_alu instid0(VALU_DEP_1) | instskip(SKIP_4) | instid1(VALU_DEP_4)
	v_min_i32_e32 v1, 15, v0
	v_lshrrev_b64 v[5:6], 20, v[5:6]
	v_cmp_gt_i32_e32 vcc_lo, 16, v0
	v_and_b32_e32 v10, 0x80, v10
	v_cmp_eq_u32_e64 s0, 0, v0
	v_dual_cndmask_b32 v6, 0, v6 :: v_dual_lshlrev_b32 v1, 3, v1
	v_cndmask_b32_e32 v5, 7, v5, vcc_lo
	s_delay_alu instid0(VALU_DEP_2) | instskip(NEXT) | instid1(VALU_DEP_2)
	v_and_or_b32 v1, 0xf8, v1, v10
	v_cmp_eq_u64_e32 vcc_lo, 0, v[5:6]
	s_delay_alu instid0(VALU_DEP_2)
	v_and_or_b32 v0, v5, 7, v1
	s_and_b32 s0, s0, vcc_lo
	s_delay_alu instid0(VALU_DEP_1) | instid1(SALU_CYCLE_1)
	v_cndmask_b32_e64 v13, v0, 0, s0
.LBB1_18:
	s_or_b32 exec_lo, exec_lo, s5
.LBB1_19:
	s_delay_alu instid0(SALU_CYCLE_1)
	s_or_b32 exec_lo, exec_lo, s4
	v_dual_mul_f32 v0, v18, v2 :: v_dual_mov_b32 v1, 0
	s_mov_b32 s4, 0x43600000
	s_delay_alu instid0(VALU_DEP_1) | instid1(SALU_CYCLE_1)
	v_minmax_f32 v6, v0, s4, 0xc3600000
	s_delay_alu instid0(VALU_DEP_1) | instskip(SKIP_1) | instid1(VALU_DEP_2)
	v_and_b32_e32 v0, 0x7f800000, v6
	v_lshrrev_b32_e32 v2, 24, v6
	v_cmp_ne_u64_e32 vcc_lo, 0x7f800000, v[0:1]
	v_and_b32_e32 v0, 0x7fffffff, v6
	s_delay_alu instid0(VALU_DEP_3) | instskip(NEXT) | instid1(VALU_DEP_2)
	v_or_b32_e32 v5, 0x7f, v2
	v_cmp_gt_u64_e64 s0, 0x43700001, v[0:1]
	s_delay_alu instid0(VALU_DEP_1) | instskip(NEXT) | instid1(SALU_CYCLE_1)
	s_and_b32 s0, vcc_lo, s0
	s_and_saveexec_b32 s5, s0
	s_cbranch_execz .LBB1_27
; %bb.20:
	v_mov_b32_e32 v5, 0
	s_mov_b32 s12, exec_lo
	v_cmpx_ne_u32_e32 0, v6
	s_cbranch_execz .LBB1_26
; %bb.21:
	v_bfe_u32 v0, v6, 23, 8
	v_and_b32_e32 v10, 0x7fffff, v6
	v_mov_b32_e32 v6, 0
	s_delay_alu instid0(VALU_DEP_3) | instskip(SKIP_2) | instid1(VALU_DEP_3)
	v_sub_nc_u32_e64 v5, 0x78, v0 clamp
	v_cmp_eq_u32_e32 vcc_lo, 0, v0
	v_add_nc_u32_e32 v0, 0xffffff89, v0
	v_cndmask_b32_e64 v21, v5, 0x77, vcc_lo
	v_or_b32_e32 v5, 0x800000, v10
	s_delay_alu instid0(VALU_DEP_3) | instskip(NEXT) | instid1(VALU_DEP_3)
	v_cndmask_b32_e64 v0, v0, 0xffffff8a, vcc_lo
	v_add_nc_u32_e32 v11, 20, v21
	s_delay_alu instid0(VALU_DEP_3) | instskip(NEXT) | instid1(VALU_DEP_2)
	v_dual_cndmask_b32 v5, v5, v10 :: v_dual_add_nc_u32 v14, 19, v21
	v_lshlrev_b64 v[10:11], v11, -1
	s_delay_alu instid0(VALU_DEP_2) | instskip(NEXT) | instid1(VALU_DEP_3)
	v_lshrrev_b64 v[19:20], v21, v[5:6]
	v_lshlrev_b64 v[14:15], v14, 1
	v_mov_b32_e32 v11, v6
	s_delay_alu instid0(VALU_DEP_4) | instskip(NEXT) | instid1(VALU_DEP_1)
	v_not_b32_e32 v10, v10
	v_and_b32_e32 v10, v5, v10
	v_and_b32_e32 v5, 0x100000, v19
	s_delay_alu instid0(VALU_DEP_2) | instskip(NEXT) | instid1(VALU_DEP_2)
	v_cmp_eq_u64_e64 s0, v[10:11], v[14:15]
	v_cmp_eq_u64_e64 s1, 0, v[5:6]
	v_lshrrev_b32_e32 v5, 23, v19
	s_delay_alu instid0(VALU_DEP_1) | instskip(NEXT) | instid1(VALU_DEP_3)
	v_add3_u32 v14, v0, v21, v5
	s_and_b32 vcc_lo, s1, s0
	s_mov_b32 s0, exec_lo
	v_subrev_co_ci_u32_e32 v10, vcc_lo, 0, v19, vcc_lo
	s_delay_alu instid0(VALU_DEP_2) | instskip(NEXT) | instid1(VALU_DEP_2)
	v_add_nc_u32_e32 v15, -1, v14
	v_and_b32_e32 v0, 0xfffff, v10
	s_delay_alu instid0(VALU_DEP_1) | instskip(SKIP_1) | instid1(VALU_DEP_4)
	v_add_co_u32 v10, vcc_lo, v0, v19
	v_add_co_ci_u32_e32 v11, vcc_lo, 0, v20, vcc_lo
                                        ; implicit-def: $vgpr0
	v_cmpx_ne_u32_e32 0, v15
	s_xor_b32 s0, exec_lo, s0
; %bb.22:
	s_delay_alu instid0(VALU_DEP_3) | instskip(SKIP_1) | instid1(VALU_DEP_2)
	v_and_b32_e32 v5, 0x1000000, v10
	v_bfe_u32 v0, v10, 24, 1
	v_cmp_eq_u64_e32 vcc_lo, 0, v[5:6]
	s_delay_alu instid0(VALU_DEP_2)
	v_lshrrev_b64 v[10:11], v0, v[10:11]
	v_cndmask_b32_e32 v0, v14, v15, vcc_lo
; %bb.23:
	s_and_not1_saveexec_b32 s0, s0
; %bb.24:
	s_delay_alu instid0(VALU_DEP_2)
	v_bfe_u32 v0, v10, 23, 1
; %bb.25:
	s_or_b32 exec_lo, exec_lo, s0
	s_delay_alu instid0(VALU_DEP_1) | instskip(SKIP_4) | instid1(VALU_DEP_4)
	v_min_i32_e32 v14, 15, v0
	v_lshrrev_b64 v[5:6], 20, v[10:11]
	v_cmp_gt_i32_e32 vcc_lo, 16, v0
	v_and_b32_e32 v2, 0x80, v2
	v_cmp_eq_u32_e64 s0, 0, v0
	v_dual_cndmask_b32 v5, 7, v5 :: v_dual_lshlrev_b32 v10, 3, v14
	v_cndmask_b32_e32 v6, 0, v6, vcc_lo
	s_delay_alu instid0(VALU_DEP_2) | instskip(NEXT) | instid1(VALU_DEP_2)
	v_and_or_b32 v2, 0xf8, v10, v2
	v_cmp_eq_u64_e32 vcc_lo, 0, v[5:6]
	s_delay_alu instid0(VALU_DEP_2)
	v_and_or_b32 v0, v5, 7, v2
	s_and_b32 s0, s0, vcc_lo
	s_delay_alu instid0(VALU_DEP_1) | instid1(SALU_CYCLE_1)
	v_cndmask_b32_e64 v5, v0, 0, s0
.LBB1_26:
	s_or_b32 exec_lo, exec_lo, s12
.LBB1_27:
	s_delay_alu instid0(SALU_CYCLE_1) | instskip(SKIP_1) | instid1(VALU_DEP_1)
	s_or_b32 exec_lo, exec_lo, s5
	v_mul_f32_e32 v0, v18, v3
	v_minmax_f32 v2, v0, s4, 0xc3600000
	s_delay_alu instid0(VALU_DEP_1) | instskip(SKIP_1) | instid1(VALU_DEP_2)
	v_and_b32_e32 v0, 0x7f800000, v2
	v_lshrrev_b32_e32 v6, 24, v2
	v_cmp_ne_u64_e32 vcc_lo, 0x7f800000, v[0:1]
	v_and_b32_e32 v0, 0x7fffffff, v2
	s_delay_alu instid0(VALU_DEP_1) | instskip(NEXT) | instid1(VALU_DEP_4)
	v_cmp_gt_u64_e64 s0, 0x43700001, v[0:1]
	v_or_b32_e32 v0, 0x7f, v6
	s_delay_alu instid0(VALU_DEP_2) | instskip(NEXT) | instid1(SALU_CYCLE_1)
	s_and_b32 s0, vcc_lo, s0
	s_and_saveexec_b32 s4, s0
	s_cbranch_execz .LBB1_35
; %bb.28:
	v_mov_b32_e32 v0, 0
	s_mov_b32 s5, exec_lo
	v_cmpx_ne_u32_e32 0, v2
	s_cbranch_execz .LBB1_34
; %bb.29:
	v_bfe_u32 v18, v2, 23, 8
	v_dual_mov_b32 v1, 0 :: v_dual_and_b32 v2, 0x7fffff, v2
	s_delay_alu instid0(VALU_DEP_2) | instskip(SKIP_2) | instid1(VALU_DEP_3)
	v_sub_nc_u32_e64 v0, 0x78, v18 clamp
	v_cmp_eq_u32_e32 vcc_lo, 0, v18
	v_add_nc_u32_e32 v18, 0xffffff89, v18
	v_cndmask_b32_e64 v19, v0, 0x77, vcc_lo
	v_or_b32_e32 v0, 0x800000, v2
	s_delay_alu instid0(VALU_DEP_1) | instskip(SKIP_1) | instid1(VALU_DEP_2)
	v_dual_cndmask_b32 v0, v0, v2 :: v_dual_add_nc_u32 v3, 20, v19
	v_add_nc_u32_e32 v10, 19, v19
	v_lshlrev_b64 v[2:3], v3, -1
	v_mov_b32_e32 v3, v1
	s_delay_alu instid0(VALU_DEP_4) | instskip(NEXT) | instid1(VALU_DEP_4)
	v_lshrrev_b64 v[14:15], v19, v[0:1]
	v_lshlrev_b64 v[10:11], v10, 1
	s_delay_alu instid0(VALU_DEP_4) | instskip(NEXT) | instid1(VALU_DEP_1)
	v_not_b32_e32 v2, v2
	v_and_b32_e32 v2, v0, v2
	s_delay_alu instid0(VALU_DEP_4) | instskip(NEXT) | instid1(VALU_DEP_2)
	v_and_b32_e32 v0, 0x100000, v14
	v_cmp_eq_u64_e64 s0, v[2:3], v[10:11]
	s_delay_alu instid0(VALU_DEP_2) | instskip(SKIP_2) | instid1(VALU_DEP_3)
	v_cmp_eq_u64_e64 s1, 0, v[0:1]
	v_cndmask_b32_e64 v0, v18, 0xffffff8a, vcc_lo
	v_lshrrev_b32_e32 v2, 23, v14
	s_and_b32 vcc_lo, s1, s0
	s_delay_alu instid0(VALU_DEP_1) | instskip(SKIP_2) | instid1(VALU_DEP_2)
	v_add3_u32 v10, v0, v19, v2
	v_subrev_co_ci_u32_e32 v3, vcc_lo, 0, v14, vcc_lo
	s_mov_b32 s0, exec_lo
	v_add_nc_u32_e32 v11, -1, v10
	s_delay_alu instid0(VALU_DEP_2) | instskip(NEXT) | instid1(VALU_DEP_1)
	v_and_b32_e32 v0, 0xfffff, v3
	v_add_co_u32 v2, vcc_lo, v0, v14
	v_add_co_ci_u32_e32 v3, vcc_lo, 0, v15, vcc_lo
                                        ; implicit-def: $vgpr0
	s_delay_alu instid0(VALU_DEP_4)
	v_cmpx_ne_u32_e32 0, v11
	s_xor_b32 s0, exec_lo, s0
; %bb.30:
	s_delay_alu instid0(VALU_DEP_3) | instskip(SKIP_1) | instid1(VALU_DEP_2)
	v_and_b32_e32 v0, 0x1000000, v2
	v_bfe_u32 v14, v2, 24, 1
	v_cmp_eq_u64_e32 vcc_lo, 0, v[0:1]
	s_delay_alu instid0(VALU_DEP_2)
	v_lshrrev_b64 v[2:3], v14, v[2:3]
	v_cndmask_b32_e32 v0, v10, v11, vcc_lo
; %bb.31:
	s_and_not1_saveexec_b32 s0, s0
; %bb.32:
	s_delay_alu instid0(VALU_DEP_2)
	v_bfe_u32 v0, v2, 23, 1
; %bb.33:
	s_or_b32 exec_lo, exec_lo, s0
	s_delay_alu instid0(VALU_DEP_1) | instskip(SKIP_4) | instid1(VALU_DEP_4)
	v_min_i32_e32 v10, 15, v0
	v_lshrrev_b64 v[1:2], 20, v[2:3]
	v_cmp_gt_i32_e32 vcc_lo, 16, v0
	v_and_b32_e32 v3, 0x80, v6
	v_cmp_eq_u32_e64 s0, 0, v0
	v_dual_cndmask_b32 v1, 7, v1 :: v_dual_lshlrev_b32 v6, 3, v10
	v_cndmask_b32_e32 v2, 0, v2, vcc_lo
	s_delay_alu instid0(VALU_DEP_2) | instskip(NEXT) | instid1(VALU_DEP_2)
	v_and_or_b32 v3, 0xf8, v6, v3
	v_cmp_eq_u64_e32 vcc_lo, 0, v[1:2]
	s_delay_alu instid0(VALU_DEP_2)
	v_and_or_b32 v0, v1, 7, v3
	s_and_b32 s0, s0, vcc_lo
	s_delay_alu instid0(VALU_DEP_1) | instid1(SALU_CYCLE_1)
	v_cndmask_b32_e64 v0, v0, 0, s0
.LBB1_34:
	s_or_b32 exec_lo, exec_lo, s5
.LBB1_35:
	s_delay_alu instid0(SALU_CYCLE_1) | instskip(SKIP_2) | instid1(VALU_DEP_2)
	s_or_b32 exec_lo, exec_lo, s4
	v_lshlrev_b32_e32 v1, 16, v5
	v_lshlrev_b32_e32 v2, 8, v13
	v_lshl_or_b32 v3, v0, 24, v1
	v_lshlrev_b64 v[0:1], 2, v[8:9]
	s_delay_alu instid0(VALU_DEP_2) | instskip(NEXT) | instid1(VALU_DEP_2)
	v_or3_b32 v2, v3, v2, v12
	v_add_co_u32 v0, vcc_lo, v16, v0
	s_delay_alu instid0(VALU_DEP_3)
	v_add_co_ci_u32_e32 v1, vcc_lo, v17, v1, vcc_lo
	global_store_b32 v[0:1], v2, off
.LBB1_36:
	s_or_b32 exec_lo, exec_lo, s3
	v_cmp_eq_u32_e32 vcc_lo, 0, v8
	s_cmp_lg_u64 s[6:7], 0
	s_cselect_b32 s0, -1, 0
	s_delay_alu instid0(SALU_CYCLE_1) | instskip(NEXT) | instid1(SALU_CYCLE_1)
	s_and_b32 s1, s0, vcc_lo
	s_and_saveexec_b32 s0, s1
	s_cbranch_execz .LBB1_38
; %bb.37:
	v_mad_u64_u32 v[0:1], null, v7, s16, v[4:5]
	v_mov_b32_e32 v1, 0
	s_delay_alu instid0(VALU_DEP_1) | instskip(NEXT) | instid1(VALU_DEP_1)
	v_lshlrev_b64 v[0:1], 2, v[0:1]
	v_add_co_u32 v2, vcc_lo, s14, v0
	s_delay_alu instid0(VALU_DEP_2)
	v_add_co_ci_u32_e32 v3, vcc_lo, s15, v1, vcc_lo
	v_add_co_u32 v0, vcc_lo, s6, v0
	v_add_co_ci_u32_e32 v1, vcc_lo, s7, v1, vcc_lo
	global_load_b32 v2, v[2:3], off
	s_waitcnt vmcnt(0)
	global_store_b32 v[0:1], v2, off
.LBB1_38:
	s_or_b32 exec_lo, exec_lo, s0
                                        ; implicit-def: $vgpr8
                                        ; implicit-def: $vgpr4
                                        ; implicit-def: $vgpr7
                                        ; implicit-def: $vgpr5
                                        ; implicit-def: $vgpr0_vgpr1
                                        ; implicit-def: $vgpr18
                                        ; implicit-def: $vgpr2
                                        ; implicit-def: $vgpr3
                                        ; implicit-def: $vgpr16
                                        ; implicit-def: $vgpr17
.LBB1_39:
	s_and_not1_saveexec_b32 s0, s2
	s_cbranch_execz .LBB1_115
; %bb.40:
	v_mad_u64_u32 v[9:10], null, v7, s16, v[4:5]
	v_mov_b32_e32 v10, 0
	s_mov_b32 s1, exec_lo
	s_delay_alu instid0(VALU_DEP_1) | instskip(NEXT) | instid1(VALU_DEP_1)
	v_lshlrev_b64 v[10:11], 2, v[9:10]
	v_add_co_u32 v6, vcc_lo, s10, v10
	s_delay_alu instid0(VALU_DEP_2)
	v_add_co_ci_u32_e32 v7, vcc_lo, s11, v11, vcc_lo
	v_add_co_u32 v12, vcc_lo, s14, v10
	v_add_co_ci_u32_e32 v13, vcc_lo, s15, v11, vcc_lo
	global_load_b32 v4, v[6:7], off
	global_load_b32 v6, v[12:13], off
	s_waitcnt vmcnt(1)
	v_cmp_neq_f32_e64 vcc_lo, 0x7f800000, |v4|
	v_cndmask_b32_e32 v4, 0xff800000, v4, vcc_lo
	s_waitcnt vmcnt(0)
	v_cmp_neq_f32_e64 vcc_lo, 0x7f800000, |v6|
	v_cndmask_b32_e32 v6, 0xff800000, v6, vcc_lo
	v_add_co_u32 v0, vcc_lo, s8, v0
	v_add_co_ci_u32_e32 v1, vcc_lo, s9, v1, vcc_lo
	s_delay_alu instid0(VALU_DEP_3) | instskip(SKIP_1) | instid1(VALU_DEP_1)
	v_max_f32_e32 v9, v6, v6
	v_max_f32_e32 v7, v4, v4
	;; [unrolled: 1-line block ×3, first 2 shown]
	s_delay_alu instid0(VALU_DEP_1)
	v_cmpx_neq_f32_e64 0x7f800000, |v19|
	s_xor_b32 s2, exec_lo, s1
	s_cbranch_execz .LBB1_78
; %bb.41:
	v_sub_f32_e32 v6, v6, v19
	v_sub_f32_e32 v4, v4, v19
	s_mov_b32 s3, exec_lo
	s_delay_alu instid0(VALU_DEP_2) | instskip(NEXT) | instid1(VALU_DEP_2)
	v_mul_f32_e32 v9, 0x3fb8aa3b, v6
	v_mul_f32_e32 v7, 0x3fb8aa3b, v4
	v_cmp_ngt_f32_e32 vcc_lo, 0xc2ce8ed0, v4
	s_delay_alu instid0(VALU_DEP_3) | instskip(NEXT) | instid1(VALU_DEP_3)
	v_fma_f32 v14, 0x3fb8aa3b, v6, -v9
	v_fma_f32 v12, 0x3fb8aa3b, v4, -v7
	v_rndne_f32_e32 v13, v7
	v_rndne_f32_e32 v15, v9
	s_delay_alu instid0(VALU_DEP_4) | instskip(NEXT) | instid1(VALU_DEP_3)
	v_fmac_f32_e32 v14, 0x32a5705f, v6
	v_dual_fmac_f32 v12, 0x32a5705f, v4 :: v_dual_sub_f32 v7, v7, v13
	s_delay_alu instid0(VALU_DEP_3) | instskip(NEXT) | instid1(VALU_DEP_2)
	v_sub_f32_e32 v9, v9, v15
	v_add_f32_e32 v7, v7, v12
	v_cvt_i32_f32_e32 v12, v13
	v_cvt_i32_f32_e32 v13, v15
	s_delay_alu instid0(VALU_DEP_3) | instskip(SKIP_2) | instid1(VALU_DEP_1)
	v_exp_f32_e32 v7, v7
	s_waitcnt_depctr 0xfff
	v_ldexp_f32 v7, v7, v12
	v_cndmask_b32_e32 v7, 0, v7, vcc_lo
	v_add_f32_e32 v9, v9, v14
	v_cmp_ngt_f32_e32 vcc_lo, 0xc2ce8ed0, v6
	s_delay_alu instid0(VALU_DEP_2) | instskip(SKIP_2) | instid1(VALU_DEP_1)
	v_exp_f32_e32 v9, v9
	s_waitcnt_depctr 0xfff
	v_ldexp_f32 v9, v9, v13
	v_cndmask_b32_e32 v9, 0, v9, vcc_lo
	v_cmp_nlt_f32_e32 vcc_lo, 0x42b17218, v4
	v_cndmask_b32_e32 v12, 0x7f800000, v7, vcc_lo
	v_cmp_nlt_f32_e32 vcc_lo, 0x42b17218, v6
	s_delay_alu instid0(VALU_DEP_4) | instskip(NEXT) | instid1(VALU_DEP_1)
	v_cndmask_b32_e32 v13, 0x7f800000, v9, vcc_lo
	v_add_f32_e32 v20, v12, v13
	v_cmpx_gt_u32_e64 s18, v5
	s_cbranch_execz .LBB1_75
; %bb.42:
	s_delay_alu instid0(VALU_DEP_2) | instskip(SKIP_2) | instid1(VALU_DEP_2)
	v_div_scale_f32 v15, null, v20, v20, v12
	v_div_scale_f32 v14, null, v20, v20, v13
	s_mov_b32 s4, 0x43600000
	v_rcp_f32_e32 v22, v15
	s_delay_alu instid0(VALU_DEP_1) | instskip(SKIP_4) | instid1(VALU_DEP_3)
	v_rcp_f32_e32 v21, v14
	s_waitcnt_depctr 0xfff
	v_fma_f32 v24, -v15, v22, 1.0
	v_mov_b32_e32 v9, 0
	v_fma_f32 v23, -v14, v21, 1.0
	v_fmac_f32_e32 v22, v24, v22
	s_delay_alu instid0(VALU_DEP_3) | instskip(NEXT) | instid1(VALU_DEP_3)
	v_lshlrev_b64 v[4:5], 4, v[8:9]
	v_fmac_f32_e32 v21, v23, v21
	v_div_scale_f32 v23, s0, v12, v20, v12
	s_delay_alu instid0(VALU_DEP_3) | instskip(NEXT) | instid1(VALU_DEP_4)
	v_add_co_u32 v2, vcc_lo, v2, v4
	v_add_co_ci_u32_e32 v3, vcc_lo, v3, v5, vcc_lo
	v_add_co_u32 v0, vcc_lo, v0, v4
	v_add_co_ci_u32_e32 v1, vcc_lo, v1, v5, vcc_lo
	global_load_b128 v[4:7], v[2:3], off
	global_load_b128 v[0:3], v[0:1], off
	v_mul_f32_e32 v26, v23, v22
	v_div_scale_f32 v25, vcc_lo, v13, v20, v13
	s_delay_alu instid0(VALU_DEP_2) | instskip(NEXT) | instid1(VALU_DEP_1)
	v_fma_f32 v28, -v15, v26, v23
	v_fmac_f32_e32 v26, v28, v22
	s_delay_alu instid0(VALU_DEP_3) | instskip(NEXT) | instid1(VALU_DEP_2)
	v_mul_f32_e32 v24, v25, v21
	v_fma_f32 v15, -v15, v26, v23
	s_delay_alu instid0(VALU_DEP_2) | instskip(NEXT) | instid1(VALU_DEP_1)
	v_fma_f32 v27, -v14, v24, v25
	v_fmac_f32_e32 v24, v27, v21
	s_delay_alu instid0(VALU_DEP_1) | instskip(NEXT) | instid1(VALU_DEP_1)
	v_fma_f32 v14, -v14, v24, v25
	v_div_fmas_f32 v14, v14, v21, v24
	s_mov_b32 vcc_lo, s0
	v_div_fmas_f32 v15, v15, v22, v26
	s_delay_alu instid0(VALU_DEP_2) | instskip(SKIP_1) | instid1(VALU_DEP_3)
	v_div_fixup_f32 v22, v14, v20, v13
	v_mov_b32_e32 v13, v9
	v_div_fixup_f32 v21, v15, v20, v12
	s_waitcnt vmcnt(1)
	s_delay_alu instid0(VALU_DEP_3) | instskip(SKIP_1) | instid1(VALU_DEP_1)
	v_dual_mov_b32 v15, v9 :: v_dual_mul_f32 v4, v22, v4
	s_waitcnt vmcnt(0)
	v_fmac_f32_e32 v4, v21, v0
	s_delay_alu instid0(VALU_DEP_1) | instskip(NEXT) | instid1(VALU_DEP_1)
	v_mul_f32_e32 v0, v18, v4
	v_minmax_f32 v4, v0, s4, 0xc3600000
	s_delay_alu instid0(VALU_DEP_1) | instskip(SKIP_2) | instid1(VALU_DEP_3)
	v_and_b32_e32 v12, 0x7f800000, v4
	v_and_b32_e32 v14, 0x7fffffff, v4
	v_lshrrev_b32_e32 v0, 24, v4
	v_cmp_ne_u64_e32 vcc_lo, 0x7f800000, v[12:13]
	s_delay_alu instid0(VALU_DEP_3) | instskip(NEXT) | instid1(VALU_DEP_3)
	v_cmp_gt_u64_e64 s0, 0x43700001, v[14:15]
	v_or_b32_e32 v14, 0x7f, v0
	s_delay_alu instid0(VALU_DEP_2) | instskip(NEXT) | instid1(SALU_CYCLE_1)
	s_and_b32 s0, vcc_lo, s0
	s_and_saveexec_b32 s5, s0
	s_cbranch_execz .LBB1_50
; %bb.43:
	v_mov_b32_e32 v14, v9
	s_mov_b32 s8, exec_lo
	v_cmpx_ne_u32_e32 0, v4
	s_cbranch_execz .LBB1_49
; %bb.44:
	v_bfe_u32 v27, v4, 23, 8
	v_dual_mov_b32 v13, 0 :: v_dual_and_b32 v4, 0x7fffff, v4
	s_delay_alu instid0(VALU_DEP_2) | instskip(SKIP_1) | instid1(VALU_DEP_2)
	v_sub_nc_u32_e64 v12, 0x78, v27 clamp
	v_cmp_eq_u32_e32 vcc_lo, 0, v27
	v_cndmask_b32_e64 v28, v12, 0x77, vcc_lo
	s_delay_alu instid0(VALU_DEP_4) | instskip(NEXT) | instid1(VALU_DEP_2)
	v_or_b32_e32 v12, 0x800000, v4
	v_add_nc_u32_e32 v14, 20, v28
	s_delay_alu instid0(VALU_DEP_2) | instskip(SKIP_1) | instid1(VALU_DEP_3)
	v_cndmask_b32_e32 v12, v12, v4, vcc_lo
	v_add_nc_u32_e32 v4, 19, v28
	v_lshlrev_b64 v[14:15], v14, -1
	v_mov_b32_e32 v15, v13
	s_delay_alu instid0(VALU_DEP_4) | instskip(NEXT) | instid1(VALU_DEP_4)
	v_lshrrev_b64 v[25:26], v28, v[12:13]
	v_lshlrev_b64 v[23:24], v4, 1
	v_add_nc_u32_e32 v4, 0xffffff89, v27
	v_not_b32_e32 v14, v14
	s_delay_alu instid0(VALU_DEP_2) | instskip(NEXT) | instid1(VALU_DEP_2)
	v_cndmask_b32_e64 v4, v4, 0xffffff8a, vcc_lo
	v_and_b32_e32 v14, v12, v14
	v_and_b32_e32 v12, 0x100000, v25
	s_delay_alu instid0(VALU_DEP_2) | instskip(NEXT) | instid1(VALU_DEP_2)
	v_cmp_eq_u64_e64 s0, v[14:15], v[23:24]
	v_cmp_eq_u64_e64 s1, 0, v[12:13]
	v_lshrrev_b32_e32 v12, 23, v25
	s_delay_alu instid0(VALU_DEP_1) | instskip(NEXT) | instid1(VALU_DEP_3)
	v_add3_u32 v23, v4, v28, v12
	s_and_b32 vcc_lo, s1, s0
	s_mov_b32 s0, exec_lo
	v_subrev_co_ci_u32_e32 v14, vcc_lo, 0, v25, vcc_lo
	s_delay_alu instid0(VALU_DEP_2) | instskip(NEXT) | instid1(VALU_DEP_2)
	v_add_nc_u32_e32 v24, -1, v23
	v_and_b32_e32 v4, 0xfffff, v14
	s_delay_alu instid0(VALU_DEP_1) | instskip(SKIP_1) | instid1(VALU_DEP_4)
	v_add_co_u32 v14, vcc_lo, v4, v25
	v_add_co_ci_u32_e32 v15, vcc_lo, 0, v26, vcc_lo
                                        ; implicit-def: $vgpr4
	v_cmpx_ne_u32_e32 0, v24
	s_xor_b32 s0, exec_lo, s0
; %bb.45:
	s_delay_alu instid0(VALU_DEP_3) | instskip(SKIP_1) | instid1(VALU_DEP_2)
	v_and_b32_e32 v12, 0x1000000, v14
	v_bfe_u32 v4, v14, 24, 1
	v_cmp_eq_u64_e32 vcc_lo, 0, v[12:13]
	s_delay_alu instid0(VALU_DEP_2)
	v_lshrrev_b64 v[14:15], v4, v[14:15]
	v_cndmask_b32_e32 v4, v23, v24, vcc_lo
; %bb.46:
	s_and_not1_saveexec_b32 s0, s0
; %bb.47:
	s_delay_alu instid0(VALU_DEP_2)
	v_bfe_u32 v4, v14, 23, 1
; %bb.48:
	s_or_b32 exec_lo, exec_lo, s0
	s_delay_alu instid0(VALU_DEP_1) | instskip(SKIP_4) | instid1(VALU_DEP_4)
	v_min_i32_e32 v23, 15, v4
	v_lshrrev_b64 v[12:13], 20, v[14:15]
	v_cmp_gt_i32_e32 vcc_lo, 16, v4
	v_and_b32_e32 v0, 0x80, v0
	v_cmp_eq_u32_e64 s0, 0, v4
	v_dual_cndmask_b32 v13, 0, v13 :: v_dual_lshlrev_b32 v14, 3, v23
	v_cndmask_b32_e32 v12, 7, v12, vcc_lo
	s_delay_alu instid0(VALU_DEP_2) | instskip(NEXT) | instid1(VALU_DEP_2)
	v_and_or_b32 v0, 0xf8, v14, v0
	v_cmp_eq_u64_e32 vcc_lo, 0, v[12:13]
	s_delay_alu instid0(VALU_DEP_2)
	v_and_or_b32 v0, v12, 7, v0
	s_and_b32 s0, s0, vcc_lo
	s_delay_alu instid0(VALU_DEP_1) | instid1(SALU_CYCLE_1)
	v_cndmask_b32_e64 v14, v0, 0, s0
.LBB1_49:
	s_or_b32 exec_lo, exec_lo, s8
.LBB1_50:
	s_delay_alu instid0(SALU_CYCLE_1) | instskip(SKIP_1) | instid1(VALU_DEP_1)
	s_or_b32 exec_lo, exec_lo, s5
	v_dual_mul_f32 v0, v22, v5 :: v_dual_mov_b32 v5, v9
	v_fmac_f32_e32 v0, v21, v1
	s_delay_alu instid0(VALU_DEP_1) | instskip(NEXT) | instid1(VALU_DEP_1)
	v_mul_f32_e32 v0, v18, v0
	v_minmax_f32 v0, v0, s4, 0xc3600000
	s_delay_alu instid0(VALU_DEP_1) | instskip(SKIP_2) | instid1(VALU_DEP_3)
	v_dual_mov_b32 v24, v9 :: v_dual_and_b32 v23, 0x7fffffff, v0
	v_and_b32_e32 v4, 0x7f800000, v0
	v_lshrrev_b32_e32 v12, 24, v0
	v_cmp_gt_u64_e64 s0, 0x43700001, v[23:24]
	s_delay_alu instid0(VALU_DEP_3) | instskip(NEXT) | instid1(VALU_DEP_3)
	v_cmp_ne_u64_e32 vcc_lo, 0x7f800000, v[4:5]
	v_or_b32_e32 v15, 0x7f, v12
	s_delay_alu instid0(VALU_DEP_3) | instskip(NEXT) | instid1(SALU_CYCLE_1)
	s_and_b32 s0, vcc_lo, s0
	s_and_saveexec_b32 s4, s0
	s_cbranch_execz .LBB1_58
; %bb.51:
	v_mov_b32_e32 v15, 0
	s_mov_b32 s5, exec_lo
	v_cmpx_ne_u32_e32 0, v0
	s_cbranch_execz .LBB1_57
; %bb.52:
	v_bfe_u32 v13, v0, 23, 8
	v_and_b32_e32 v0, 0x7fffff, v0
	s_delay_alu instid0(VALU_DEP_2) | instskip(SKIP_2) | instid1(VALU_DEP_3)
	v_sub_nc_u32_e64 v1, 0x78, v13 clamp
	v_cmp_eq_u32_e32 vcc_lo, 0, v13
	v_add_nc_u32_e32 v13, 0xffffff89, v13
	v_cndmask_b32_e64 v15, v1, 0x77, vcc_lo
	v_mov_b32_e32 v1, 0
	v_or_b32_e32 v4, 0x800000, v0
	s_delay_alu instid0(VALU_DEP_3) | instskip(NEXT) | instid1(VALU_DEP_2)
	v_add_nc_u32_e32 v5, 20, v15
	v_dual_cndmask_b32 v0, v4, v0 :: v_dual_add_nc_u32 v25, 19, v15
	s_delay_alu instid0(VALU_DEP_2) | instskip(NEXT) | instid1(VALU_DEP_2)
	v_lshlrev_b64 v[4:5], v5, -1
	v_lshlrev_b64 v[25:26], v25, 1
	s_delay_alu instid0(VALU_DEP_3) | instskip(NEXT) | instid1(VALU_DEP_3)
	v_lshrrev_b64 v[23:24], v15, v[0:1]
	v_not_b32_e32 v4, v4
	s_delay_alu instid0(VALU_DEP_1) | instskip(NEXT) | instid1(VALU_DEP_3)
	v_dual_mov_b32 v5, v1 :: v_dual_and_b32 v4, v0, v4
	v_and_b32_e32 v0, 0x100000, v23
	s_delay_alu instid0(VALU_DEP_2) | instskip(NEXT) | instid1(VALU_DEP_2)
	v_cmp_eq_u64_e64 s0, v[4:5], v[25:26]
	v_cmp_eq_u64_e64 s1, 0, v[0:1]
	v_cndmask_b32_e64 v0, v13, 0xffffff8a, vcc_lo
	v_lshrrev_b32_e32 v4, 23, v23
	s_delay_alu instid0(VALU_DEP_3) | instskip(NEXT) | instid1(VALU_DEP_1)
	s_and_b32 vcc_lo, s1, s0
	v_add3_u32 v13, v0, v15, v4
	v_subrev_co_ci_u32_e32 v5, vcc_lo, 0, v23, vcc_lo
	s_mov_b32 s0, exec_lo
	s_delay_alu instid0(VALU_DEP_2) | instskip(NEXT) | instid1(VALU_DEP_2)
	v_add_nc_u32_e32 v15, -1, v13
	v_and_b32_e32 v0, 0xfffff, v5
	s_delay_alu instid0(VALU_DEP_1) | instskip(SKIP_1) | instid1(VALU_DEP_4)
	v_add_co_u32 v4, vcc_lo, v0, v23
	v_add_co_ci_u32_e32 v5, vcc_lo, 0, v24, vcc_lo
                                        ; implicit-def: $vgpr0
	v_cmpx_ne_u32_e32 0, v15
	s_xor_b32 s0, exec_lo, s0
; %bb.53:
	s_delay_alu instid0(VALU_DEP_3) | instskip(SKIP_1) | instid1(VALU_DEP_2)
	v_and_b32_e32 v0, 0x1000000, v4
	v_bfe_u32 v23, v4, 24, 1
	v_cmp_eq_u64_e32 vcc_lo, 0, v[0:1]
	s_delay_alu instid0(VALU_DEP_2)
	v_lshrrev_b64 v[4:5], v23, v[4:5]
	v_cndmask_b32_e32 v0, v13, v15, vcc_lo
; %bb.54:
	s_and_not1_saveexec_b32 s0, s0
; %bb.55:
	s_delay_alu instid0(VALU_DEP_2)
	v_bfe_u32 v0, v4, 23, 1
; %bb.56:
	s_or_b32 exec_lo, exec_lo, s0
	s_delay_alu instid0(VALU_DEP_1) | instskip(SKIP_4) | instid1(VALU_DEP_4)
	v_min_i32_e32 v1, 15, v0
	v_lshrrev_b64 v[4:5], 20, v[4:5]
	v_cmp_gt_i32_e32 vcc_lo, 16, v0
	v_and_b32_e32 v12, 0x80, v12
	v_cmp_eq_u32_e64 s0, 0, v0
	v_dual_cndmask_b32 v4, 7, v4 :: v_dual_lshlrev_b32 v1, 3, v1
	v_cndmask_b32_e32 v5, 0, v5, vcc_lo
	s_delay_alu instid0(VALU_DEP_2) | instskip(NEXT) | instid1(VALU_DEP_2)
	v_and_or_b32 v1, 0xf8, v1, v12
	v_cmp_eq_u64_e32 vcc_lo, 0, v[4:5]
	s_delay_alu instid0(VALU_DEP_2)
	v_and_or_b32 v0, v4, 7, v1
	s_and_b32 s0, s0, vcc_lo
	s_delay_alu instid0(VALU_DEP_1) | instid1(SALU_CYCLE_1)
	v_cndmask_b32_e64 v15, v0, 0, s0
.LBB1_57:
	s_or_b32 exec_lo, exec_lo, s5
.LBB1_58:
	s_delay_alu instid0(SALU_CYCLE_1) | instskip(SKIP_2) | instid1(VALU_DEP_1)
	s_or_b32 exec_lo, exec_lo, s4
	v_dual_mul_f32 v0, v22, v6 :: v_dual_mov_b32 v1, 0
	s_mov_b32 s4, 0x43600000
	v_fmac_f32_e32 v0, v21, v2
	s_delay_alu instid0(VALU_DEP_1) | instskip(NEXT) | instid1(VALU_DEP_1)
	v_mul_f32_e32 v0, v18, v0
	v_minmax_f32 v5, v0, s4, 0xc3600000
	s_delay_alu instid0(VALU_DEP_1) | instskip(SKIP_1) | instid1(VALU_DEP_2)
	v_and_b32_e32 v0, 0x7f800000, v5
	v_lshrrev_b32_e32 v2, 24, v5
	v_cmp_ne_u64_e32 vcc_lo, 0x7f800000, v[0:1]
	v_and_b32_e32 v0, 0x7fffffff, v5
	s_delay_alu instid0(VALU_DEP_3) | instskip(NEXT) | instid1(VALU_DEP_2)
	v_or_b32_e32 v4, 0x7f, v2
	v_cmp_gt_u64_e64 s0, 0x43700001, v[0:1]
	s_delay_alu instid0(VALU_DEP_1) | instskip(NEXT) | instid1(SALU_CYCLE_1)
	s_and_b32 s0, vcc_lo, s0
	s_and_saveexec_b32 s5, s0
	s_cbranch_execz .LBB1_66
; %bb.59:
	v_mov_b32_e32 v4, 0
	s_mov_b32 s8, exec_lo
	v_cmpx_ne_u32_e32 0, v5
	s_cbranch_execz .LBB1_65
; %bb.60:
	v_bfe_u32 v0, v5, 23, 8
	v_dual_mov_b32 v5, 0 :: v_dual_and_b32 v6, 0x7fffff, v5
	s_delay_alu instid0(VALU_DEP_2) | instskip(SKIP_2) | instid1(VALU_DEP_3)
	v_sub_nc_u32_e64 v4, 0x78, v0 clamp
	v_cmp_eq_u32_e32 vcc_lo, 0, v0
	v_add_nc_u32_e32 v0, 0xffffff89, v0
	v_cndmask_b32_e64 v23, v4, 0x77, vcc_lo
	v_or_b32_e32 v4, 0x800000, v6
	s_delay_alu instid0(VALU_DEP_3) | instskip(NEXT) | instid1(VALU_DEP_3)
	v_cndmask_b32_e64 v0, v0, 0xffffff8a, vcc_lo
	v_add_nc_u32_e32 v12, 20, v23
	s_delay_alu instid0(VALU_DEP_3) | instskip(SKIP_1) | instid1(VALU_DEP_3)
	v_cndmask_b32_e32 v4, v4, v6, vcc_lo
	v_add_nc_u32_e32 v6, 19, v23
	v_lshlrev_b64 v[12:13], v12, -1
	v_mov_b32_e32 v13, v5
	s_delay_alu instid0(VALU_DEP_4) | instskip(NEXT) | instid1(VALU_DEP_4)
	v_lshrrev_b64 v[24:25], v23, v[4:5]
	v_lshlrev_b64 v[26:27], v6, 1
	s_delay_alu instid0(VALU_DEP_4) | instskip(NEXT) | instid1(VALU_DEP_1)
	v_not_b32_e32 v12, v12
	v_and_b32_e32 v12, v4, v12
	s_delay_alu instid0(VALU_DEP_4) | instskip(NEXT) | instid1(VALU_DEP_2)
	v_and_b32_e32 v4, 0x100000, v24
	v_cmp_eq_u64_e64 s0, v[12:13], v[26:27]
	s_delay_alu instid0(VALU_DEP_2) | instskip(SKIP_1) | instid1(VALU_DEP_1)
	v_cmp_eq_u64_e64 s1, 0, v[4:5]
	v_lshrrev_b32_e32 v4, 23, v24
	v_add3_u32 v6, v0, v23, v4
	s_delay_alu instid0(VALU_DEP_3) | instskip(SKIP_2) | instid1(VALU_DEP_2)
	s_and_b32 vcc_lo, s1, s0
	s_mov_b32 s0, exec_lo
	v_subrev_co_ci_u32_e32 v12, vcc_lo, 0, v24, vcc_lo
	v_add_nc_u32_e32 v23, -1, v6
	s_delay_alu instid0(VALU_DEP_2) | instskip(NEXT) | instid1(VALU_DEP_1)
	v_and_b32_e32 v0, 0xfffff, v12
	v_add_co_u32 v12, vcc_lo, v0, v24
	v_add_co_ci_u32_e32 v13, vcc_lo, 0, v25, vcc_lo
                                        ; implicit-def: $vgpr0
	s_delay_alu instid0(VALU_DEP_4)
	v_cmpx_ne_u32_e32 0, v23
	s_xor_b32 s0, exec_lo, s0
; %bb.61:
	s_delay_alu instid0(VALU_DEP_3) | instskip(SKIP_1) | instid1(VALU_DEP_2)
	v_and_b32_e32 v4, 0x1000000, v12
	v_bfe_u32 v0, v12, 24, 1
	v_cmp_eq_u64_e32 vcc_lo, 0, v[4:5]
	s_delay_alu instid0(VALU_DEP_2)
	v_lshrrev_b64 v[12:13], v0, v[12:13]
	v_cndmask_b32_e32 v0, v6, v23, vcc_lo
; %bb.62:
	s_and_not1_saveexec_b32 s0, s0
; %bb.63:
	s_delay_alu instid0(VALU_DEP_2)
	v_bfe_u32 v0, v12, 23, 1
; %bb.64:
	s_or_b32 exec_lo, exec_lo, s0
	s_delay_alu instid0(VALU_DEP_1) | instskip(SKIP_4) | instid1(VALU_DEP_4)
	v_min_i32_e32 v6, 15, v0
	v_lshrrev_b64 v[4:5], 20, v[12:13]
	v_cmp_gt_i32_e32 vcc_lo, 16, v0
	v_and_b32_e32 v2, 0x80, v2
	v_cmp_eq_u32_e64 s0, 0, v0
	v_dual_cndmask_b32 v5, 0, v5 :: v_dual_lshlrev_b32 v6, 3, v6
	v_cndmask_b32_e32 v4, 7, v4, vcc_lo
	s_delay_alu instid0(VALU_DEP_2) | instskip(NEXT) | instid1(VALU_DEP_2)
	v_and_or_b32 v2, 0xf8, v6, v2
	v_cmp_eq_u64_e32 vcc_lo, 0, v[4:5]
	s_delay_alu instid0(VALU_DEP_2)
	v_and_or_b32 v0, v4, 7, v2
	s_and_b32 s0, s0, vcc_lo
	s_delay_alu instid0(VALU_DEP_1) | instid1(SALU_CYCLE_1)
	v_cndmask_b32_e64 v4, v0, 0, s0
.LBB1_65:
	s_or_b32 exec_lo, exec_lo, s8
.LBB1_66:
	s_delay_alu instid0(SALU_CYCLE_1) | instskip(SKIP_1) | instid1(VALU_DEP_1)
	s_or_b32 exec_lo, exec_lo, s5
	v_mul_f32_e32 v0, v22, v7
	v_fmac_f32_e32 v0, v21, v3
	s_delay_alu instid0(VALU_DEP_1) | instskip(NEXT) | instid1(VALU_DEP_1)
	v_mul_f32_e32 v0, v18, v0
	v_minmax_f32 v2, v0, s4, 0xc3600000
	s_delay_alu instid0(VALU_DEP_1) | instskip(SKIP_1) | instid1(VALU_DEP_2)
	v_and_b32_e32 v0, 0x7f800000, v2
	v_lshrrev_b32_e32 v5, 24, v2
	v_cmp_ne_u64_e32 vcc_lo, 0x7f800000, v[0:1]
	v_and_b32_e32 v0, 0x7fffffff, v2
	s_delay_alu instid0(VALU_DEP_1) | instskip(NEXT) | instid1(VALU_DEP_4)
	v_cmp_gt_u64_e64 s0, 0x43700001, v[0:1]
	v_or_b32_e32 v0, 0x7f, v5
	s_delay_alu instid0(VALU_DEP_2) | instskip(NEXT) | instid1(SALU_CYCLE_1)
	s_and_b32 s0, vcc_lo, s0
	s_and_saveexec_b32 s4, s0
	s_cbranch_execz .LBB1_74
; %bb.67:
	v_mov_b32_e32 v0, 0
	s_mov_b32 s5, exec_lo
	v_cmpx_ne_u32_e32 0, v2
	s_cbranch_execz .LBB1_73
; %bb.68:
	v_bfe_u32 v18, v2, 23, 8
	v_dual_mov_b32 v1, 0 :: v_dual_and_b32 v2, 0x7fffff, v2
	s_delay_alu instid0(VALU_DEP_2) | instskip(SKIP_2) | instid1(VALU_DEP_3)
	v_sub_nc_u32_e64 v0, 0x78, v18 clamp
	v_cmp_eq_u32_e32 vcc_lo, 0, v18
	v_add_nc_u32_e32 v18, 0xffffff89, v18
	v_cndmask_b32_e64 v21, v0, 0x77, vcc_lo
	v_or_b32_e32 v0, 0x800000, v2
	s_delay_alu instid0(VALU_DEP_1) | instskip(SKIP_1) | instid1(VALU_DEP_2)
	v_dual_cndmask_b32 v0, v0, v2 :: v_dual_add_nc_u32 v3, 20, v21
	v_add_nc_u32_e32 v6, 19, v21
	v_lshlrev_b64 v[2:3], v3, -1
	v_mov_b32_e32 v3, v1
	s_delay_alu instid0(VALU_DEP_4) | instskip(NEXT) | instid1(VALU_DEP_4)
	v_lshrrev_b64 v[12:13], v21, v[0:1]
	v_lshlrev_b64 v[6:7], v6, 1
	s_delay_alu instid0(VALU_DEP_4) | instskip(NEXT) | instid1(VALU_DEP_1)
	v_not_b32_e32 v2, v2
	v_and_b32_e32 v2, v0, v2
	s_delay_alu instid0(VALU_DEP_4) | instskip(NEXT) | instid1(VALU_DEP_2)
	v_and_b32_e32 v0, 0x100000, v12
	v_cmp_eq_u64_e64 s0, v[2:3], v[6:7]
	s_delay_alu instid0(VALU_DEP_2) | instskip(SKIP_2) | instid1(VALU_DEP_3)
	v_cmp_eq_u64_e64 s1, 0, v[0:1]
	v_cndmask_b32_e64 v0, v18, 0xffffff8a, vcc_lo
	v_lshrrev_b32_e32 v2, 23, v12
	s_and_b32 vcc_lo, s1, s0
	s_delay_alu instid0(VALU_DEP_1) | instskip(SKIP_2) | instid1(VALU_DEP_2)
	v_add3_u32 v6, v0, v21, v2
	v_subrev_co_ci_u32_e32 v3, vcc_lo, 0, v12, vcc_lo
	s_mov_b32 s0, exec_lo
	v_add_nc_u32_e32 v7, -1, v6
	s_delay_alu instid0(VALU_DEP_2) | instskip(NEXT) | instid1(VALU_DEP_1)
	v_and_b32_e32 v0, 0xfffff, v3
	v_add_co_u32 v2, vcc_lo, v0, v12
	v_add_co_ci_u32_e32 v3, vcc_lo, 0, v13, vcc_lo
                                        ; implicit-def: $vgpr0
	s_delay_alu instid0(VALU_DEP_4)
	v_cmpx_ne_u32_e32 0, v7
	s_xor_b32 s0, exec_lo, s0
; %bb.69:
	s_delay_alu instid0(VALU_DEP_3) | instskip(SKIP_1) | instid1(VALU_DEP_2)
	v_and_b32_e32 v0, 0x1000000, v2
	v_bfe_u32 v12, v2, 24, 1
	v_cmp_eq_u64_e32 vcc_lo, 0, v[0:1]
	s_delay_alu instid0(VALU_DEP_2)
	v_lshrrev_b64 v[2:3], v12, v[2:3]
	v_cndmask_b32_e32 v0, v6, v7, vcc_lo
; %bb.70:
	s_and_not1_saveexec_b32 s0, s0
; %bb.71:
	s_delay_alu instid0(VALU_DEP_2)
	v_bfe_u32 v0, v2, 23, 1
; %bb.72:
	s_or_b32 exec_lo, exec_lo, s0
	s_delay_alu instid0(VALU_DEP_1)
	v_min_i32_e32 v6, 15, v0
	v_lshrrev_b64 v[1:2], 20, v[2:3]
	v_cmp_gt_i32_e32 vcc_lo, 16, v0
	v_and_b32_e32 v3, 0x80, v5
	v_cmp_eq_u32_e64 s0, 0, v0
	v_lshlrev_b32_e32 v5, 3, v6
	v_dual_cndmask_b32 v2, 0, v2 :: v_dual_cndmask_b32 v1, 7, v1
	s_delay_alu instid0(VALU_DEP_2) | instskip(NEXT) | instid1(VALU_DEP_2)
	v_and_or_b32 v3, 0xf8, v5, v3
	v_cmp_eq_u64_e32 vcc_lo, 0, v[1:2]
	s_delay_alu instid0(VALU_DEP_2)
	v_and_or_b32 v0, v1, 7, v3
	s_and_b32 s0, s0, vcc_lo
	s_delay_alu instid0(VALU_DEP_1) | instid1(SALU_CYCLE_1)
	v_cndmask_b32_e64 v0, v0, 0, s0
.LBB1_73:
	s_or_b32 exec_lo, exec_lo, s5
.LBB1_74:
	s_delay_alu instid0(SALU_CYCLE_1) | instskip(SKIP_2) | instid1(VALU_DEP_2)
	s_or_b32 exec_lo, exec_lo, s4
	v_lshlrev_b32_e32 v1, 16, v4
	v_lshlrev_b32_e32 v2, 8, v15
	v_lshl_or_b32 v3, v0, 24, v1
	v_lshlrev_b64 v[0:1], 2, v[8:9]
	s_delay_alu instid0(VALU_DEP_2) | instskip(NEXT) | instid1(VALU_DEP_2)
	v_or3_b32 v2, v3, v2, v14
	v_add_co_u32 v0, vcc_lo, v16, v0
	s_delay_alu instid0(VALU_DEP_3)
	v_add_co_ci_u32_e32 v1, vcc_lo, v17, v1, vcc_lo
	global_store_b32 v[0:1], v2, off
.LBB1_75:
	s_or_b32 exec_lo, exec_lo, s3
	v_cmp_eq_u32_e32 vcc_lo, 0, v8
	s_cmp_lg_u64 s[6:7], 0
	s_cselect_b32 s0, -1, 0
	s_delay_alu instid0(SALU_CYCLE_1) | instskip(NEXT) | instid1(SALU_CYCLE_1)
	s_and_b32 s0, s0, vcc_lo
	s_and_saveexec_b32 s1, s0
	s_cbranch_execz .LBB1_77
; %bb.76:
	v_cmp_gt_f32_e32 vcc_lo, 0x800000, v20
	v_cndmask_b32_e64 v0, 1.0, 0x4f800000, vcc_lo
	s_delay_alu instid0(VALU_DEP_1) | instskip(NEXT) | instid1(VALU_DEP_1)
	v_mul_f32_e32 v0, v20, v0
	v_log_f32_e32 v0, v0
	s_waitcnt_depctr 0xfff
	v_mul_f32_e32 v1, 0x3f317217, v0
	v_cmp_gt_f32_e64 s0, 0x7f800000, |v0|
	s_delay_alu instid0(VALU_DEP_2) | instskip(NEXT) | instid1(VALU_DEP_1)
	v_fma_f32 v2, 0x3f317217, v0, -v1
	v_fmamk_f32 v2, v0, 0x3377d1cf, v2
	s_delay_alu instid0(VALU_DEP_1) | instskip(NEXT) | instid1(VALU_DEP_1)
	v_add_f32_e32 v1, v1, v2
	v_cndmask_b32_e64 v0, v0, v1, s0
	v_cndmask_b32_e64 v1, 0, 0x41b17218, vcc_lo
	s_delay_alu instid0(VALU_DEP_1) | instskip(SKIP_2) | instid1(VALU_DEP_3)
	v_sub_f32_e32 v2, v0, v1
	v_add_co_u32 v0, vcc_lo, s6, v10
	v_add_co_ci_u32_e32 v1, vcc_lo, s7, v11, vcc_lo
	v_add_f32_e32 v2, v19, v2
	global_store_b32 v[0:1], v2, off
.LBB1_77:
	s_or_b32 exec_lo, exec_lo, s1
                                        ; implicit-def: $vgpr19
                                        ; implicit-def: $vgpr10_vgpr11
                                        ; implicit-def: $vgpr0
                                        ; implicit-def: $vgpr1
                                        ; implicit-def: $vgpr8
                                        ; implicit-def: $vgpr5
                                        ; implicit-def: $vgpr18
                                        ; implicit-def: $vgpr16
                                        ; implicit-def: $vgpr17
.LBB1_78:
	s_and_not1_saveexec_b32 s0, s2
	s_cbranch_execz .LBB1_115
; %bb.79:
	s_mov_b32 s2, exec_lo
	v_cmpx_gt_u32_e64 s18, v5
	s_cbranch_execz .LBB1_113
; %bb.80:
	v_mov_b32_e32 v9, 0
	s_mov_b32 s3, 0x43600000
	s_delay_alu instid0(VALU_DEP_1) | instskip(NEXT) | instid1(VALU_DEP_1)
	v_lshlrev_b64 v[2:3], 4, v[8:9]
	v_add_co_u32 v0, vcc_lo, v0, v2
	s_delay_alu instid0(VALU_DEP_2) | instskip(SKIP_3) | instid1(VALU_DEP_1)
	v_add_co_ci_u32_e32 v1, vcc_lo, v1, v3, vcc_lo
	global_load_b128 v[0:3], v[0:1], off
	s_waitcnt vmcnt(0)
	v_mul_f32_e32 v0, v18, v0
	v_minmax_f32 v4, v0, s3, 0xc3600000
	v_mov_b32_e32 v6, v9
	s_delay_alu instid0(VALU_DEP_2) | instskip(SKIP_2) | instid1(VALU_DEP_3)
	v_dual_mov_b32 v13, v9 :: v_dual_and_b32 v12, 0x7fffffff, v4
	v_and_b32_e32 v5, 0x7f800000, v4
	v_lshrrev_b32_e32 v0, 24, v4
	v_cmp_gt_u64_e64 s0, 0x43700001, v[12:13]
	s_delay_alu instid0(VALU_DEP_3) | instskip(NEXT) | instid1(VALU_DEP_3)
	v_cmp_ne_u64_e32 vcc_lo, 0x7f800000, v[5:6]
	v_or_b32_e32 v12, 0x7f, v0
	s_delay_alu instid0(VALU_DEP_3) | instskip(NEXT) | instid1(SALU_CYCLE_1)
	s_and_b32 s0, vcc_lo, s0
	s_and_saveexec_b32 s4, s0
	s_cbranch_execz .LBB1_88
; %bb.81:
	v_mov_b32_e32 v12, v9
	s_mov_b32 s5, exec_lo
	v_cmpx_ne_u32_e32 0, v4
	s_cbranch_execz .LBB1_87
; %bb.82:
	v_bfe_u32 v20, v4, 23, 8
	v_and_b32_e32 v4, 0x7fffff, v4
	s_delay_alu instid0(VALU_DEP_2) | instskip(SKIP_2) | instid1(VALU_DEP_3)
	v_sub_nc_u32_e64 v5, 0x78, v20 clamp
	v_cmp_eq_u32_e32 vcc_lo, 0, v20
	v_add_nc_u32_e32 v20, 0xffffff89, v20
	v_cndmask_b32_e64 v21, v5, 0x77, vcc_lo
	v_mov_b32_e32 v5, 0
	v_or_b32_e32 v6, 0x800000, v4
	s_delay_alu instid0(VALU_DEP_3) | instskip(SKIP_1) | instid1(VALU_DEP_3)
	v_add_nc_u32_e32 v7, 20, v21
	v_add_nc_u32_e32 v12, 19, v21
	v_cndmask_b32_e32 v4, v6, v4, vcc_lo
	s_delay_alu instid0(VALU_DEP_3) | instskip(SKIP_1) | instid1(VALU_DEP_3)
	v_lshlrev_b64 v[6:7], v7, -1
	v_mov_b32_e32 v7, v5
	v_lshrrev_b64 v[14:15], v21, v[4:5]
	v_lshlrev_b64 v[12:13], v12, 1
	s_delay_alu instid0(VALU_DEP_4) | instskip(NEXT) | instid1(VALU_DEP_1)
	v_not_b32_e32 v6, v6
	v_and_b32_e32 v6, v4, v6
	s_delay_alu instid0(VALU_DEP_4) | instskip(NEXT) | instid1(VALU_DEP_2)
	v_and_b32_e32 v4, 0x100000, v14
	v_cmp_eq_u64_e64 s0, v[6:7], v[12:13]
	s_delay_alu instid0(VALU_DEP_2) | instskip(SKIP_2) | instid1(VALU_DEP_3)
	v_cmp_eq_u64_e64 s1, 0, v[4:5]
	v_cndmask_b32_e64 v4, v20, 0xffffff8a, vcc_lo
	v_lshrrev_b32_e32 v6, 23, v14
	s_and_b32 vcc_lo, s1, s0
	s_delay_alu instid0(VALU_DEP_1) | instskip(SKIP_2) | instid1(VALU_DEP_2)
	v_add3_u32 v12, v4, v21, v6
	v_subrev_co_ci_u32_e32 v7, vcc_lo, 0, v14, vcc_lo
	s_mov_b32 s0, exec_lo
	v_add_nc_u32_e32 v13, -1, v12
	s_delay_alu instid0(VALU_DEP_2) | instskip(NEXT) | instid1(VALU_DEP_1)
	v_and_b32_e32 v4, 0xfffff, v7
	v_add_co_u32 v6, vcc_lo, v4, v14
	v_add_co_ci_u32_e32 v7, vcc_lo, 0, v15, vcc_lo
                                        ; implicit-def: $vgpr4
	s_delay_alu instid0(VALU_DEP_4)
	v_cmpx_ne_u32_e32 0, v13
	s_xor_b32 s0, exec_lo, s0
; %bb.83:
	s_delay_alu instid0(VALU_DEP_3) | instskip(SKIP_1) | instid1(VALU_DEP_2)
	v_and_b32_e32 v4, 0x1000000, v6
	v_bfe_u32 v14, v6, 24, 1
	v_cmp_eq_u64_e32 vcc_lo, 0, v[4:5]
	s_delay_alu instid0(VALU_DEP_2)
	v_lshrrev_b64 v[6:7], v14, v[6:7]
	v_cndmask_b32_e32 v4, v12, v13, vcc_lo
; %bb.84:
	s_and_not1_saveexec_b32 s0, s0
; %bb.85:
	s_delay_alu instid0(VALU_DEP_2)
	v_bfe_u32 v4, v6, 23, 1
; %bb.86:
	s_or_b32 exec_lo, exec_lo, s0
	s_delay_alu instid0(VALU_DEP_1) | instskip(SKIP_4) | instid1(VALU_DEP_4)
	v_min_i32_e32 v12, 15, v4
	v_lshrrev_b64 v[5:6], 20, v[6:7]
	v_cmp_gt_i32_e32 vcc_lo, 16, v4
	v_and_b32_e32 v0, 0x80, v0
	v_cmp_eq_u32_e64 s0, 0, v4
	v_dual_cndmask_b32 v6, 0, v6 :: v_dual_lshlrev_b32 v7, 3, v12
	v_cndmask_b32_e32 v5, 7, v5, vcc_lo
	s_delay_alu instid0(VALU_DEP_2) | instskip(NEXT) | instid1(VALU_DEP_2)
	v_and_or_b32 v0, 0xf8, v7, v0
	v_cmp_eq_u64_e32 vcc_lo, 0, v[5:6]
	s_delay_alu instid0(VALU_DEP_2)
	v_and_or_b32 v0, v5, 7, v0
	s_and_b32 s0, s0, vcc_lo
	s_delay_alu instid0(VALU_DEP_1) | instid1(SALU_CYCLE_1)
	v_cndmask_b32_e64 v12, v0, 0, s0
.LBB1_87:
	s_or_b32 exec_lo, exec_lo, s5
.LBB1_88:
	s_delay_alu instid0(SALU_CYCLE_1) | instskip(SKIP_1) | instid1(VALU_DEP_1)
	s_or_b32 exec_lo, exec_lo, s4
	v_dual_mul_f32 v0, v18, v1 :: v_dual_mov_b32 v5, v9
	v_minmax_f32 v0, v0, s3, 0xc3600000
	s_delay_alu instid0(VALU_DEP_1) | instskip(SKIP_2) | instid1(VALU_DEP_3)
	v_dual_mov_b32 v14, v9 :: v_dual_and_b32 v13, 0x7fffffff, v0
	v_and_b32_e32 v4, 0x7f800000, v0
	v_lshrrev_b32_e32 v6, 24, v0
	v_cmp_gt_u64_e64 s0, 0x43700001, v[13:14]
	s_delay_alu instid0(VALU_DEP_3) | instskip(NEXT) | instid1(VALU_DEP_3)
	v_cmp_ne_u64_e32 vcc_lo, 0x7f800000, v[4:5]
	v_or_b32_e32 v13, 0x7f, v6
	s_delay_alu instid0(VALU_DEP_3) | instskip(NEXT) | instid1(SALU_CYCLE_1)
	s_and_b32 s0, vcc_lo, s0
	s_and_saveexec_b32 s3, s0
	s_cbranch_execz .LBB1_96
; %bb.89:
	v_mov_b32_e32 v13, 0
	s_mov_b32 s4, exec_lo
	v_cmpx_ne_u32_e32 0, v0
	s_cbranch_execz .LBB1_95
; %bb.90:
	v_bfe_u32 v7, v0, 23, 8
	v_and_b32_e32 v0, 0x7fffff, v0
	s_delay_alu instid0(VALU_DEP_2) | instskip(SKIP_2) | instid1(VALU_DEP_3)
	v_sub_nc_u32_e64 v1, 0x78, v7 clamp
	v_cmp_eq_u32_e32 vcc_lo, 0, v7
	v_add_nc_u32_e32 v7, 0xffffff89, v7
	v_cndmask_b32_e64 v13, v1, 0x77, vcc_lo
	v_mov_b32_e32 v1, 0
	v_or_b32_e32 v4, 0x800000, v0
	s_delay_alu instid0(VALU_DEP_3) | instskip(SKIP_1) | instid1(VALU_DEP_3)
	v_add_nc_u32_e32 v5, 20, v13
	v_add_nc_u32_e32 v20, 19, v13
	v_cndmask_b32_e32 v0, v4, v0, vcc_lo
	s_delay_alu instid0(VALU_DEP_3) | instskip(SKIP_1) | instid1(VALU_DEP_3)
	v_lshlrev_b64 v[4:5], v5, -1
	v_mov_b32_e32 v5, v1
	v_lshrrev_b64 v[14:15], v13, v[0:1]
	v_lshlrev_b64 v[20:21], v20, 1
	s_delay_alu instid0(VALU_DEP_4) | instskip(NEXT) | instid1(VALU_DEP_1)
	v_not_b32_e32 v4, v4
	v_and_b32_e32 v4, v0, v4
	s_delay_alu instid0(VALU_DEP_4) | instskip(NEXT) | instid1(VALU_DEP_2)
	v_and_b32_e32 v0, 0x100000, v14
	v_cmp_eq_u64_e64 s0, v[4:5], v[20:21]
	s_delay_alu instid0(VALU_DEP_2) | instskip(SKIP_2) | instid1(VALU_DEP_3)
	v_cmp_eq_u64_e64 s1, 0, v[0:1]
	v_cndmask_b32_e64 v0, v7, 0xffffff8a, vcc_lo
	v_lshrrev_b32_e32 v4, 23, v14
	s_and_b32 vcc_lo, s1, s0
	s_delay_alu instid0(VALU_DEP_1) | instskip(SKIP_2) | instid1(VALU_DEP_2)
	v_add3_u32 v7, v0, v13, v4
	v_subrev_co_ci_u32_e32 v5, vcc_lo, 0, v14, vcc_lo
	s_mov_b32 s0, exec_lo
	v_add_nc_u32_e32 v13, -1, v7
	s_delay_alu instid0(VALU_DEP_2) | instskip(NEXT) | instid1(VALU_DEP_1)
	v_and_b32_e32 v0, 0xfffff, v5
	v_add_co_u32 v4, vcc_lo, v0, v14
	v_add_co_ci_u32_e32 v5, vcc_lo, 0, v15, vcc_lo
                                        ; implicit-def: $vgpr0
	s_delay_alu instid0(VALU_DEP_4)
	v_cmpx_ne_u32_e32 0, v13
	s_xor_b32 s0, exec_lo, s0
; %bb.91:
	s_delay_alu instid0(VALU_DEP_3) | instskip(SKIP_1) | instid1(VALU_DEP_2)
	v_and_b32_e32 v0, 0x1000000, v4
	v_bfe_u32 v14, v4, 24, 1
	v_cmp_eq_u64_e32 vcc_lo, 0, v[0:1]
	s_delay_alu instid0(VALU_DEP_2)
	v_lshrrev_b64 v[4:5], v14, v[4:5]
	v_cndmask_b32_e32 v0, v7, v13, vcc_lo
; %bb.92:
	s_and_not1_saveexec_b32 s0, s0
; %bb.93:
	s_delay_alu instid0(VALU_DEP_2)
	v_bfe_u32 v0, v4, 23, 1
; %bb.94:
	s_or_b32 exec_lo, exec_lo, s0
	s_delay_alu instid0(VALU_DEP_1) | instskip(SKIP_4) | instid1(VALU_DEP_4)
	v_min_i32_e32 v1, 15, v0
	v_lshrrev_b64 v[4:5], 20, v[4:5]
	v_cmp_gt_i32_e32 vcc_lo, 16, v0
	v_and_b32_e32 v6, 0x80, v6
	v_cmp_eq_u32_e64 s0, 0, v0
	v_dual_cndmask_b32 v4, 7, v4 :: v_dual_lshlrev_b32 v1, 3, v1
	v_cndmask_b32_e32 v5, 0, v5, vcc_lo
	s_delay_alu instid0(VALU_DEP_2) | instskip(NEXT) | instid1(VALU_DEP_2)
	v_and_or_b32 v1, 0xf8, v1, v6
	v_cmp_eq_u64_e32 vcc_lo, 0, v[4:5]
	s_delay_alu instid0(VALU_DEP_2)
	v_and_or_b32 v0, v4, 7, v1
	s_and_b32 s0, s0, vcc_lo
	s_delay_alu instid0(VALU_DEP_1) | instid1(SALU_CYCLE_1)
	v_cndmask_b32_e64 v13, v0, 0, s0
.LBB1_95:
	s_or_b32 exec_lo, exec_lo, s4
.LBB1_96:
	s_delay_alu instid0(SALU_CYCLE_1)
	s_or_b32 exec_lo, exec_lo, s3
	v_dual_mul_f32 v0, v18, v2 :: v_dual_mov_b32 v1, 0
	s_mov_b32 s3, 0x43600000
	s_delay_alu instid0(VALU_DEP_1) | instid1(SALU_CYCLE_1)
	v_minmax_f32 v5, v0, s3, 0xc3600000
	s_delay_alu instid0(VALU_DEP_1) | instskip(SKIP_1) | instid1(VALU_DEP_2)
	v_and_b32_e32 v0, 0x7f800000, v5
	v_lshrrev_b32_e32 v2, 24, v5
	v_cmp_ne_u64_e32 vcc_lo, 0x7f800000, v[0:1]
	v_and_b32_e32 v0, 0x7fffffff, v5
	s_delay_alu instid0(VALU_DEP_3) | instskip(NEXT) | instid1(VALU_DEP_2)
	v_or_b32_e32 v4, 0x7f, v2
	v_cmp_gt_u64_e64 s0, 0x43700001, v[0:1]
	s_delay_alu instid0(VALU_DEP_1) | instskip(NEXT) | instid1(SALU_CYCLE_1)
	s_and_b32 s0, vcc_lo, s0
	s_and_saveexec_b32 s4, s0
	s_cbranch_execz .LBB1_104
; %bb.97:
	v_mov_b32_e32 v4, 0
	s_mov_b32 s5, exec_lo
	v_cmpx_ne_u32_e32 0, v5
	s_cbranch_execz .LBB1_103
; %bb.98:
	v_bfe_u32 v0, v5, 23, 8
	v_dual_mov_b32 v5, 0 :: v_dual_and_b32 v6, 0x7fffff, v5
	s_delay_alu instid0(VALU_DEP_2) | instskip(SKIP_2) | instid1(VALU_DEP_3)
	v_sub_nc_u32_e64 v4, 0x78, v0 clamp
	v_cmp_eq_u32_e32 vcc_lo, 0, v0
	v_add_nc_u32_e32 v0, 0xffffff89, v0
	v_cndmask_b32_e64 v22, v4, 0x77, vcc_lo
	v_or_b32_e32 v4, 0x800000, v6
	s_delay_alu instid0(VALU_DEP_3) | instskip(NEXT) | instid1(VALU_DEP_3)
	v_cndmask_b32_e64 v0, v0, 0xffffff8a, vcc_lo
	v_add_nc_u32_e32 v7, 20, v22
	s_delay_alu instid0(VALU_DEP_3) | instskip(SKIP_1) | instid1(VALU_DEP_3)
	v_cndmask_b32_e32 v4, v4, v6, vcc_lo
	v_add_nc_u32_e32 v14, 19, v22
	v_lshlrev_b64 v[6:7], v7, -1
	v_mov_b32_e32 v7, v5
	s_delay_alu instid0(VALU_DEP_4) | instskip(NEXT) | instid1(VALU_DEP_4)
	v_lshrrev_b64 v[20:21], v22, v[4:5]
	v_lshlrev_b64 v[14:15], v14, 1
	s_delay_alu instid0(VALU_DEP_4) | instskip(NEXT) | instid1(VALU_DEP_1)
	v_not_b32_e32 v6, v6
	v_and_b32_e32 v6, v4, v6
	s_delay_alu instid0(VALU_DEP_4) | instskip(NEXT) | instid1(VALU_DEP_2)
	v_and_b32_e32 v4, 0x100000, v20
	v_cmp_eq_u64_e64 s0, v[6:7], v[14:15]
	s_delay_alu instid0(VALU_DEP_2) | instskip(SKIP_1) | instid1(VALU_DEP_1)
	v_cmp_eq_u64_e64 s1, 0, v[4:5]
	v_lshrrev_b32_e32 v4, 23, v20
	v_add3_u32 v14, v0, v22, v4
	s_delay_alu instid0(VALU_DEP_3) | instskip(SKIP_2) | instid1(VALU_DEP_2)
	s_and_b32 vcc_lo, s1, s0
	s_mov_b32 s0, exec_lo
	v_subrev_co_ci_u32_e32 v6, vcc_lo, 0, v20, vcc_lo
	v_add_nc_u32_e32 v15, -1, v14
	s_delay_alu instid0(VALU_DEP_2) | instskip(NEXT) | instid1(VALU_DEP_1)
	v_and_b32_e32 v0, 0xfffff, v6
	v_add_co_u32 v6, vcc_lo, v0, v20
	v_add_co_ci_u32_e32 v7, vcc_lo, 0, v21, vcc_lo
                                        ; implicit-def: $vgpr0
	s_delay_alu instid0(VALU_DEP_4)
	v_cmpx_ne_u32_e32 0, v15
	s_xor_b32 s0, exec_lo, s0
; %bb.99:
	s_delay_alu instid0(VALU_DEP_3) | instskip(SKIP_1) | instid1(VALU_DEP_2)
	v_and_b32_e32 v4, 0x1000000, v6
	v_bfe_u32 v0, v6, 24, 1
	v_cmp_eq_u64_e32 vcc_lo, 0, v[4:5]
	s_delay_alu instid0(VALU_DEP_2)
	v_lshrrev_b64 v[6:7], v0, v[6:7]
	v_cndmask_b32_e32 v0, v14, v15, vcc_lo
; %bb.100:
	s_and_not1_saveexec_b32 s0, s0
; %bb.101:
	s_delay_alu instid0(VALU_DEP_2)
	v_bfe_u32 v0, v6, 23, 1
; %bb.102:
	s_or_b32 exec_lo, exec_lo, s0
	s_delay_alu instid0(VALU_DEP_1) | instskip(SKIP_4) | instid1(VALU_DEP_4)
	v_min_i32_e32 v14, 15, v0
	v_lshrrev_b64 v[4:5], 20, v[6:7]
	v_cmp_gt_i32_e32 vcc_lo, 16, v0
	v_and_b32_e32 v2, 0x80, v2
	v_cmp_eq_u32_e64 s0, 0, v0
	v_dual_cndmask_b32 v5, 0, v5 :: v_dual_lshlrev_b32 v6, 3, v14
	v_cndmask_b32_e32 v4, 7, v4, vcc_lo
	s_delay_alu instid0(VALU_DEP_2) | instskip(NEXT) | instid1(VALU_DEP_2)
	v_and_or_b32 v2, 0xf8, v6, v2
	v_cmp_eq_u64_e32 vcc_lo, 0, v[4:5]
	s_delay_alu instid0(VALU_DEP_2)
	v_and_or_b32 v0, v4, 7, v2
	s_and_b32 s0, s0, vcc_lo
	s_delay_alu instid0(VALU_DEP_1) | instid1(SALU_CYCLE_1)
	v_cndmask_b32_e64 v4, v0, 0, s0
.LBB1_103:
	s_or_b32 exec_lo, exec_lo, s5
.LBB1_104:
	s_delay_alu instid0(SALU_CYCLE_1) | instskip(SKIP_1) | instid1(VALU_DEP_1)
	s_or_b32 exec_lo, exec_lo, s4
	v_mul_f32_e32 v0, v18, v3
	v_minmax_f32 v2, v0, s3, 0xc3600000
	s_delay_alu instid0(VALU_DEP_1) | instskip(SKIP_1) | instid1(VALU_DEP_2)
	v_and_b32_e32 v0, 0x7f800000, v2
	v_lshrrev_b32_e32 v5, 24, v2
	v_cmp_ne_u64_e32 vcc_lo, 0x7f800000, v[0:1]
	v_and_b32_e32 v0, 0x7fffffff, v2
	s_delay_alu instid0(VALU_DEP_1) | instskip(NEXT) | instid1(VALU_DEP_4)
	v_cmp_gt_u64_e64 s0, 0x43700001, v[0:1]
	v_or_b32_e32 v0, 0x7f, v5
	s_delay_alu instid0(VALU_DEP_2) | instskip(NEXT) | instid1(SALU_CYCLE_1)
	s_and_b32 s0, vcc_lo, s0
	s_and_saveexec_b32 s3, s0
	s_cbranch_execz .LBB1_112
; %bb.105:
	v_mov_b32_e32 v0, 0
	s_mov_b32 s4, exec_lo
	v_cmpx_ne_u32_e32 0, v2
	s_cbranch_execz .LBB1_111
; %bb.106:
	v_bfe_u32 v18, v2, 23, 8
	v_dual_mov_b32 v1, 0 :: v_dual_and_b32 v2, 0x7fffff, v2
	s_delay_alu instid0(VALU_DEP_2) | instskip(SKIP_2) | instid1(VALU_DEP_3)
	v_sub_nc_u32_e64 v0, 0x78, v18 clamp
	v_cmp_eq_u32_e32 vcc_lo, 0, v18
	v_add_nc_u32_e32 v18, 0xffffff89, v18
	v_cndmask_b32_e64 v20, v0, 0x77, vcc_lo
	v_or_b32_e32 v0, 0x800000, v2
	s_delay_alu instid0(VALU_DEP_1) | instskip(SKIP_1) | instid1(VALU_DEP_2)
	v_dual_cndmask_b32 v0, v0, v2 :: v_dual_add_nc_u32 v3, 20, v20
	v_add_nc_u32_e32 v6, 19, v20
	v_lshlrev_b64 v[2:3], v3, -1
	v_mov_b32_e32 v3, v1
	s_delay_alu instid0(VALU_DEP_4) | instskip(NEXT) | instid1(VALU_DEP_4)
	v_lshrrev_b64 v[14:15], v20, v[0:1]
	v_lshlrev_b64 v[6:7], v6, 1
	s_delay_alu instid0(VALU_DEP_4) | instskip(NEXT) | instid1(VALU_DEP_1)
	v_not_b32_e32 v2, v2
	v_and_b32_e32 v2, v0, v2
	s_delay_alu instid0(VALU_DEP_4) | instskip(NEXT) | instid1(VALU_DEP_2)
	v_and_b32_e32 v0, 0x100000, v14
	v_cmp_eq_u64_e64 s0, v[2:3], v[6:7]
	s_delay_alu instid0(VALU_DEP_2) | instskip(SKIP_2) | instid1(VALU_DEP_3)
	v_cmp_eq_u64_e64 s1, 0, v[0:1]
	v_cndmask_b32_e64 v0, v18, 0xffffff8a, vcc_lo
	v_lshrrev_b32_e32 v2, 23, v14
	s_and_b32 vcc_lo, s1, s0
	s_delay_alu instid0(VALU_DEP_1) | instskip(SKIP_2) | instid1(VALU_DEP_2)
	v_add3_u32 v6, v0, v20, v2
	v_subrev_co_ci_u32_e32 v3, vcc_lo, 0, v14, vcc_lo
	s_mov_b32 s0, exec_lo
	v_add_nc_u32_e32 v7, -1, v6
	s_delay_alu instid0(VALU_DEP_2) | instskip(NEXT) | instid1(VALU_DEP_1)
	v_and_b32_e32 v0, 0xfffff, v3
	v_add_co_u32 v2, vcc_lo, v0, v14
	v_add_co_ci_u32_e32 v3, vcc_lo, 0, v15, vcc_lo
                                        ; implicit-def: $vgpr0
	s_delay_alu instid0(VALU_DEP_4)
	v_cmpx_ne_u32_e32 0, v7
	s_xor_b32 s0, exec_lo, s0
; %bb.107:
	s_delay_alu instid0(VALU_DEP_3) | instskip(SKIP_1) | instid1(VALU_DEP_2)
	v_and_b32_e32 v0, 0x1000000, v2
	v_bfe_u32 v14, v2, 24, 1
	v_cmp_eq_u64_e32 vcc_lo, 0, v[0:1]
	s_delay_alu instid0(VALU_DEP_2)
	v_lshrrev_b64 v[2:3], v14, v[2:3]
	v_cndmask_b32_e32 v0, v6, v7, vcc_lo
; %bb.108:
	s_and_not1_saveexec_b32 s0, s0
; %bb.109:
	s_delay_alu instid0(VALU_DEP_2)
	v_bfe_u32 v0, v2, 23, 1
; %bb.110:
	s_or_b32 exec_lo, exec_lo, s0
	s_delay_alu instid0(VALU_DEP_1)
	v_min_i32_e32 v6, 15, v0
	v_lshrrev_b64 v[1:2], 20, v[2:3]
	v_cmp_gt_i32_e32 vcc_lo, 16, v0
	v_and_b32_e32 v3, 0x80, v5
	v_cmp_eq_u32_e64 s0, 0, v0
	v_lshlrev_b32_e32 v5, 3, v6
	v_dual_cndmask_b32 v2, 0, v2 :: v_dual_cndmask_b32 v1, 7, v1
	s_delay_alu instid0(VALU_DEP_2) | instskip(NEXT) | instid1(VALU_DEP_2)
	v_and_or_b32 v3, 0xf8, v5, v3
	v_cmp_eq_u64_e32 vcc_lo, 0, v[1:2]
	s_delay_alu instid0(VALU_DEP_2)
	v_and_or_b32 v0, v1, 7, v3
	s_and_b32 s0, s0, vcc_lo
	s_delay_alu instid0(VALU_DEP_1) | instid1(SALU_CYCLE_1)
	v_cndmask_b32_e64 v0, v0, 0, s0
.LBB1_111:
	s_or_b32 exec_lo, exec_lo, s4
.LBB1_112:
	s_delay_alu instid0(SALU_CYCLE_1) | instskip(SKIP_2) | instid1(VALU_DEP_2)
	s_or_b32 exec_lo, exec_lo, s3
	v_lshlrev_b32_e32 v1, 16, v4
	v_lshlrev_b32_e32 v2, 8, v13
	v_lshl_or_b32 v3, v0, 24, v1
	v_lshlrev_b64 v[0:1], 2, v[8:9]
	s_delay_alu instid0(VALU_DEP_2) | instskip(NEXT) | instid1(VALU_DEP_2)
	v_or3_b32 v2, v3, v2, v12
	v_add_co_u32 v0, vcc_lo, v16, v0
	s_delay_alu instid0(VALU_DEP_3)
	v_add_co_ci_u32_e32 v1, vcc_lo, v17, v1, vcc_lo
	global_store_b32 v[0:1], v2, off
.LBB1_113:
	s_or_b32 exec_lo, exec_lo, s2
	v_cmp_eq_u32_e32 vcc_lo, 0, v8
	s_cmp_lg_u64 s[6:7], 0
	s_cselect_b32 s0, -1, 0
	s_delay_alu instid0(SALU_CYCLE_1) | instskip(NEXT) | instid1(SALU_CYCLE_1)
	s_and_b32 s0, s0, vcc_lo
	s_and_saveexec_b32 s1, s0
	s_cbranch_execz .LBB1_115
; %bb.114:
	v_add_co_u32 v0, vcc_lo, s6, v10
	v_add_co_ci_u32_e32 v1, vcc_lo, s7, v11, vcc_lo
	global_store_b32 v[0:1], v19, off
.LBB1_115:
	s_nop 0
	s_sendmsg sendmsg(MSG_DEALLOC_VGPRS)
	s_endpgm
	.section	.rodata,"a",@progbits
	.p2align	6, 0x0
	.amdhsa_kernel _ZN4vllm24merge_attn_states_kernelIfN3c1015Float8_e4m3fnuzELj128ELb1EEEvPT0_PfPKT_PKfS8_SA_jjjjjjSA_
		.amdhsa_group_segment_fixed_size 0
		.amdhsa_private_segment_fixed_size 0
		.amdhsa_kernarg_size 80
		.amdhsa_user_sgpr_count 15
		.amdhsa_user_sgpr_dispatch_ptr 0
		.amdhsa_user_sgpr_queue_ptr 0
		.amdhsa_user_sgpr_kernarg_segment_ptr 1
		.amdhsa_user_sgpr_dispatch_id 0
		.amdhsa_user_sgpr_private_segment_size 0
		.amdhsa_wavefront_size32 1
		.amdhsa_uses_dynamic_stack 0
		.amdhsa_enable_private_segment 0
		.amdhsa_system_sgpr_workgroup_id_x 1
		.amdhsa_system_sgpr_workgroup_id_y 0
		.amdhsa_system_sgpr_workgroup_id_z 0
		.amdhsa_system_sgpr_workgroup_info 0
		.amdhsa_system_vgpr_workitem_id 0
		.amdhsa_next_free_vgpr 29
		.amdhsa_next_free_sgpr 24
		.amdhsa_reserve_vcc 1
		.amdhsa_float_round_mode_32 0
		.amdhsa_float_round_mode_16_64 0
		.amdhsa_float_denorm_mode_32 3
		.amdhsa_float_denorm_mode_16_64 3
		.amdhsa_dx10_clamp 1
		.amdhsa_ieee_mode 1
		.amdhsa_fp16_overflow 0
		.amdhsa_workgroup_processor_mode 1
		.amdhsa_memory_ordered 1
		.amdhsa_forward_progress 0
		.amdhsa_shared_vgpr_count 0
		.amdhsa_exception_fp_ieee_invalid_op 0
		.amdhsa_exception_fp_denorm_src 0
		.amdhsa_exception_fp_ieee_div_zero 0
		.amdhsa_exception_fp_ieee_overflow 0
		.amdhsa_exception_fp_ieee_underflow 0
		.amdhsa_exception_fp_ieee_inexact 0
		.amdhsa_exception_int_div_zero 0
	.end_amdhsa_kernel
	.section	.text._ZN4vllm24merge_attn_states_kernelIfN3c1015Float8_e4m3fnuzELj128ELb1EEEvPT0_PfPKT_PKfS8_SA_jjjjjjSA_,"axG",@progbits,_ZN4vllm24merge_attn_states_kernelIfN3c1015Float8_e4m3fnuzELj128ELb1EEEvPT0_PfPKT_PKfS8_SA_jjjjjjSA_,comdat
.Lfunc_end1:
	.size	_ZN4vllm24merge_attn_states_kernelIfN3c1015Float8_e4m3fnuzELj128ELb1EEEvPT0_PfPKT_PKfS8_SA_jjjjjjSA_, .Lfunc_end1-_ZN4vllm24merge_attn_states_kernelIfN3c1015Float8_e4m3fnuzELj128ELb1EEEvPT0_PfPKT_PKfS8_SA_jjjjjjSA_
                                        ; -- End function
	.section	.AMDGPU.csdata,"",@progbits
; Kernel info:
; codeLenInByte = 8196
; NumSgprs: 26
; NumVgprs: 29
; ScratchSize: 0
; MemoryBound: 0
; FloatMode: 240
; IeeeMode: 1
; LDSByteSize: 0 bytes/workgroup (compile time only)
; SGPRBlocks: 3
; VGPRBlocks: 3
; NumSGPRsForWavesPerEU: 26
; NumVGPRsForWavesPerEU: 29
; Occupancy: 16
; WaveLimiterHint : 0
; COMPUTE_PGM_RSRC2:SCRATCH_EN: 0
; COMPUTE_PGM_RSRC2:USER_SGPR: 15
; COMPUTE_PGM_RSRC2:TRAP_HANDLER: 0
; COMPUTE_PGM_RSRC2:TGID_X_EN: 1
; COMPUTE_PGM_RSRC2:TGID_Y_EN: 0
; COMPUTE_PGM_RSRC2:TGID_Z_EN: 0
; COMPUTE_PGM_RSRC2:TIDIG_COMP_CNT: 0
	.section	.text._ZN4vllm24merge_attn_states_kernelIffLj128ELb0EEEvPT0_PfPKT_PKfS6_S8_jjjjjjS8_,"axG",@progbits,_ZN4vllm24merge_attn_states_kernelIffLj128ELb0EEEvPT0_PfPKT_PKfS6_S8_jjjjjjS8_,comdat
	.protected	_ZN4vllm24merge_attn_states_kernelIffLj128ELb0EEEvPT0_PfPKT_PKfS6_S8_jjjjjjS8_ ; -- Begin function _ZN4vllm24merge_attn_states_kernelIffLj128ELb0EEEvPT0_PfPKT_PKfS6_S8_jjjjjjS8_
	.globl	_ZN4vllm24merge_attn_states_kernelIffLj128ELb0EEEvPT0_PfPKT_PKfS6_S8_jjjjjjS8_
	.p2align	8
	.type	_ZN4vllm24merge_attn_states_kernelIffLj128ELb0EEEvPT0_PfPKT_PKfS6_S8_jjjjjjS8_,@function
_ZN4vllm24merge_attn_states_kernelIffLj128ELb0EEEvPT0_PfPKT_PKfS6_S8_jjjjjjS8_: ; @_ZN4vllm24merge_attn_states_kernelIffLj128ELb0EEEvPT0_PfPKT_PKfS6_S8_jjjjjjS8_
; %bb.0:
	s_load_b128 s[16:19], s[0:1], 0x30
	v_lshl_add_u32 v0, s15, 7, v0
	s_waitcnt lgkmcnt(0)
	s_lshr_b32 s12, s18, 2
	s_mul_i32 s2, s17, s16
	s_delay_alu instid0(SALU_CYCLE_1) | instskip(NEXT) | instid1(SALU_CYCLE_1)
	s_mul_i32 s2, s2, s12
	v_cmp_gt_u32_e32 vcc_lo, s2, v0
	s_and_saveexec_b32 s2, vcc_lo
	s_cbranch_execz .LBB2_19
; %bb.1:
	v_cvt_f32_u32_e32 v1, s12
	v_cvt_f32_u32_e32 v3, s17
	s_sub_i32 s2, 0, s12
	s_clause 0x1
	s_load_b64 s[14:15], s[0:1], 0x40
	s_load_b256 s[4:11], s[0:1], 0x0
	v_rcp_iflag_f32_e32 v1, v1
	v_rcp_iflag_f32_e32 v3, v3
	s_waitcnt_depctr 0xfff
	v_mul_f32_e32 v1, 0x4f7ffffe, v1
	s_delay_alu instid0(VALU_DEP_1) | instskip(NEXT) | instid1(VALU_DEP_1)
	v_cvt_u32_f32_e32 v1, v1
	v_mul_lo_u32 v2, s2, v1
	s_sub_i32 s2, 0, s17
	s_delay_alu instid0(VALU_DEP_1) | instskip(NEXT) | instid1(VALU_DEP_1)
	v_mul_hi_u32 v2, v1, v2
	v_dual_mul_f32 v2, 0x4f7ffffe, v3 :: v_dual_add_nc_u32 v1, v1, v2
	s_delay_alu instid0(VALU_DEP_1) | instskip(NEXT) | instid1(VALU_DEP_1)
	v_cvt_u32_f32_e32 v2, v2
	v_mul_lo_u32 v4, s2, v2
	s_load_b128 s[0:3], s[0:1], 0x20
	s_delay_alu instid0(VALU_DEP_1) | instskip(NEXT) | instid1(VALU_DEP_1)
	v_mul_hi_u32 v4, v2, v4
	v_add_nc_u32_e32 v2, v2, v4
	v_mov_b32_e32 v4, 0
	v_mul_hi_u32 v1, v0, v1
	s_delay_alu instid0(VALU_DEP_1) | instskip(SKIP_1) | instid1(VALU_DEP_2)
	v_mul_lo_u32 v3, v1, s12
	v_add_nc_u32_e32 v5, 1, v1
	v_sub_nc_u32_e32 v3, v0, v3
	s_delay_alu instid0(VALU_DEP_1) | instskip(SKIP_1) | instid1(VALU_DEP_4)
	v_cmp_le_u32_e32 vcc_lo, s12, v3
	v_subrev_nc_u32_e32 v6, s12, v3
	v_cndmask_b32_e32 v1, v1, v5, vcc_lo
	s_delay_alu instid0(VALU_DEP_1) | instskip(NEXT) | instid1(VALU_DEP_3)
	v_add_nc_u32_e32 v5, 1, v1
	v_cndmask_b32_e32 v3, v3, v6, vcc_lo
	s_delay_alu instid0(VALU_DEP_1) | instskip(NEXT) | instid1(VALU_DEP_3)
	v_cmp_le_u32_e32 vcc_lo, s12, v3
	v_cndmask_b32_e32 v8, v1, v5, vcc_lo
	s_delay_alu instid0(VALU_DEP_1) | instskip(SKIP_3) | instid1(VALU_DEP_3)
	v_mul_hi_u32 v1, v8, v2
	v_mul_lo_u32 v5, v8, s12
	s_waitcnt lgkmcnt(0)
	v_mul_lo_u32 v6, v8, s14
	v_mul_lo_u32 v2, v1, s17
	v_add_nc_u32_e32 v3, 1, v1
	s_delay_alu instid0(VALU_DEP_4) | instskip(NEXT) | instid1(VALU_DEP_3)
	v_sub_nc_u32_e32 v0, v0, v5
	v_sub_nc_u32_e32 v2, v8, v2
	s_delay_alu instid0(VALU_DEP_1) | instskip(SKIP_2) | instid1(VALU_DEP_3)
	v_subrev_nc_u32_e32 v7, s17, v2
	v_cmp_le_u32_e32 vcc_lo, s17, v2
	v_cndmask_b32_e32 v1, v1, v3, vcc_lo
	v_cndmask_b32_e32 v2, v2, v7, vcc_lo
	v_mul_lo_u32 v3, v8, s19
	s_delay_alu instid0(VALU_DEP_3) | instskip(NEXT) | instid1(VALU_DEP_3)
	v_add_nc_u32_e32 v9, 1, v1
	v_cmp_le_u32_e32 vcc_lo, s17, v2
	v_mov_b32_e32 v7, v4
	s_delay_alu instid0(VALU_DEP_4) | instskip(NEXT) | instid1(VALU_DEP_4)
	v_lshlrev_b64 v[4:5], 2, v[3:4]
	v_cndmask_b32_e32 v2, v1, v9, vcc_lo
	s_delay_alu instid0(VALU_DEP_3) | instskip(SKIP_1) | instid1(VALU_DEP_3)
	v_lshlrev_b64 v[6:7], 2, v[6:7]
	v_lshlrev_b32_e32 v1, 2, v0
	v_mul_lo_u32 v3, v2, s17
	v_add_co_u32 v9, vcc_lo, s0, v4
	v_add_co_ci_u32_e32 v10, vcc_lo, s1, v5, vcc_lo
	v_add_co_u32 v6, vcc_lo, s4, v6
	v_add_co_ci_u32_e32 v7, vcc_lo, s5, v7, vcc_lo
	v_sub_nc_u32_e32 v3, v8, v3
	s_mov_b32 s0, exec_lo
	v_cmpx_le_u32_e64 s15, v2
	s_xor_b32 s0, exec_lo, s0
	s_cbranch_execz .LBB2_7
; %bb.2:
	s_mov_b32 s1, exec_lo
	v_cmpx_gt_u32_e64 s18, v1
	s_cbranch_execz .LBB2_4
; %bb.3:
	v_mov_b32_e32 v1, 0
	s_delay_alu instid0(VALU_DEP_1) | instskip(NEXT) | instid1(VALU_DEP_1)
	v_lshlrev_b64 v[4:5], 4, v[0:1]
	v_add_co_u32 v8, vcc_lo, v9, v4
	s_delay_alu instid0(VALU_DEP_2)
	v_add_co_ci_u32_e32 v9, vcc_lo, v10, v5, vcc_lo
	v_add_co_u32 v4, vcc_lo, v6, v4
	v_add_co_ci_u32_e32 v5, vcc_lo, v7, v5, vcc_lo
	global_load_b128 v[8:11], v[8:9], off
	s_waitcnt vmcnt(0)
	global_store_b128 v[4:5], v[8:11], off
.LBB2_4:
	s_or_b32 exec_lo, exec_lo, s1
	v_cmp_eq_u32_e32 vcc_lo, 0, v0
	s_cmp_lg_u64 s[6:7], 0
	s_cselect_b32 s1, -1, 0
	s_delay_alu instid0(SALU_CYCLE_1) | instskip(NEXT) | instid1(SALU_CYCLE_1)
	s_and_b32 s4, s1, vcc_lo
	s_and_saveexec_b32 s1, s4
	s_cbranch_execz .LBB2_6
; %bb.5:
	v_mad_u64_u32 v[0:1], null, v3, s16, v[2:3]
	v_mov_b32_e32 v1, 0
	s_delay_alu instid0(VALU_DEP_1) | instskip(NEXT) | instid1(VALU_DEP_1)
	v_lshlrev_b64 v[0:1], 2, v[0:1]
	v_add_co_u32 v2, vcc_lo, s2, v0
	s_delay_alu instid0(VALU_DEP_2)
	v_add_co_ci_u32_e32 v3, vcc_lo, s3, v1, vcc_lo
	v_add_co_u32 v0, vcc_lo, s6, v0
	v_add_co_ci_u32_e32 v1, vcc_lo, s7, v1, vcc_lo
	global_load_b32 v2, v[2:3], off
	s_waitcnt vmcnt(0)
	global_store_b32 v[0:1], v2, off
.LBB2_6:
	s_or_b32 exec_lo, exec_lo, s1
                                        ; implicit-def: $vgpr0
                                        ; implicit-def: $vgpr2
                                        ; implicit-def: $vgpr3
                                        ; implicit-def: $vgpr1
                                        ; implicit-def: $vgpr4_vgpr5
                                        ; implicit-def: $vgpr9
                                        ; implicit-def: $vgpr10
                                        ; implicit-def: $vgpr6
                                        ; implicit-def: $vgpr7
.LBB2_7:
	s_and_not1_saveexec_b32 s0, s0
	s_cbranch_execz .LBB2_19
; %bb.8:
	v_mad_u64_u32 v[11:12], null, v3, s16, v[2:3]
	v_mov_b32_e32 v12, 0
	s_mov_b32 s1, exec_lo
	s_delay_alu instid0(VALU_DEP_1) | instskip(NEXT) | instid1(VALU_DEP_1)
	v_lshlrev_b64 v[2:3], 2, v[11:12]
	v_add_co_u32 v11, vcc_lo, s10, v2
	s_delay_alu instid0(VALU_DEP_2)
	v_add_co_ci_u32_e32 v12, vcc_lo, s11, v3, vcc_lo
	v_add_co_u32 v13, vcc_lo, s2, v2
	v_add_co_ci_u32_e32 v14, vcc_lo, s3, v3, vcc_lo
	global_load_b32 v8, v[11:12], off
	global_load_b32 v12, v[13:14], off
	s_waitcnt vmcnt(1)
	v_cmp_neq_f32_e64 vcc_lo, 0x7f800000, |v8|
	v_cndmask_b32_e32 v11, 0xff800000, v8, vcc_lo
	s_waitcnt vmcnt(0)
	v_cmp_neq_f32_e64 vcc_lo, 0x7f800000, |v12|
	v_cndmask_b32_e32 v12, 0xff800000, v12, vcc_lo
	s_delay_alu instid0(VALU_DEP_3) | instskip(SKIP_2) | instid1(VALU_DEP_4)
	v_max_f32_e32 v8, v11, v11
	v_add_co_u32 v4, vcc_lo, s8, v4
	v_add_co_ci_u32_e32 v5, vcc_lo, s9, v5, vcc_lo
	v_max_f32_e32 v13, v12, v12
	s_delay_alu instid0(VALU_DEP_1) | instskip(NEXT) | instid1(VALU_DEP_1)
	v_max_f32_e32 v8, v8, v13
	v_cmpx_neq_f32_e64 0x7f800000, |v8|
	s_xor_b32 s1, exec_lo, s1
	s_cbranch_execz .LBB2_14
; %bb.9:
	v_sub_f32_e32 v13, v12, v8
	v_sub_f32_e32 v11, v11, v8
	s_mov_b32 s2, exec_lo
	s_delay_alu instid0(VALU_DEP_2) | instskip(NEXT) | instid1(VALU_DEP_2)
	v_mul_f32_e32 v14, 0x3fb8aa3b, v13
	v_mul_f32_e32 v12, 0x3fb8aa3b, v11
	v_cmp_ngt_f32_e32 vcc_lo, 0xc2ce8ed0, v11
	s_delay_alu instid0(VALU_DEP_3) | instskip(NEXT) | instid1(VALU_DEP_3)
	v_fma_f32 v17, 0x3fb8aa3b, v13, -v14
	v_fma_f32 v15, 0x3fb8aa3b, v11, -v12
	v_rndne_f32_e32 v16, v12
	v_rndne_f32_e32 v18, v14
	s_delay_alu instid0(VALU_DEP_4) | instskip(NEXT) | instid1(VALU_DEP_3)
	v_fmac_f32_e32 v17, 0x32a5705f, v13
	v_dual_fmac_f32 v15, 0x32a5705f, v11 :: v_dual_sub_f32 v12, v12, v16
	s_delay_alu instid0(VALU_DEP_3) | instskip(NEXT) | instid1(VALU_DEP_2)
	v_sub_f32_e32 v14, v14, v18
	v_add_f32_e32 v12, v12, v15
	s_delay_alu instid0(VALU_DEP_2) | instskip(SKIP_2) | instid1(VALU_DEP_4)
	v_add_f32_e32 v14, v14, v17
	v_cvt_i32_f32_e32 v15, v16
	v_cvt_i32_f32_e32 v16, v18
	v_exp_f32_e32 v12, v12
	s_delay_alu instid0(VALU_DEP_3) | instskip(SKIP_3) | instid1(VALU_DEP_2)
	v_exp_f32_e32 v14, v14
	s_waitcnt_depctr 0xfff
	v_ldexp_f32 v12, v12, v15
	v_ldexp_f32 v14, v14, v16
	v_cndmask_b32_e32 v12, 0, v12, vcc_lo
	v_cmp_ngt_f32_e32 vcc_lo, 0xc2ce8ed0, v13
	s_delay_alu instid0(VALU_DEP_3) | instskip(SKIP_1) | instid1(VALU_DEP_4)
	v_cndmask_b32_e32 v14, 0, v14, vcc_lo
	v_cmp_nlt_f32_e32 vcc_lo, 0x42b17218, v11
	v_cndmask_b32_e32 v12, 0x7f800000, v12, vcc_lo
	v_cmp_nlt_f32_e32 vcc_lo, 0x42b17218, v13
	s_delay_alu instid0(VALU_DEP_4) | instskip(NEXT) | instid1(VALU_DEP_1)
	v_cndmask_b32_e32 v13, 0x7f800000, v14, vcc_lo
	v_add_f32_e32 v11, v12, v13
	v_cmpx_gt_u32_e64 s18, v1
	s_cbranch_execz .LBB2_11
; %bb.10:
	v_mov_b32_e32 v1, 0
	s_delay_alu instid0(VALU_DEP_1) | instskip(SKIP_1) | instid1(VALU_DEP_2)
	v_lshlrev_b64 v[22:23], 4, v[0:1]
	v_div_scale_f32 v1, null, v11, v11, v13
	v_add_co_u32 v9, vcc_lo, v9, v22
	s_delay_alu instid0(VALU_DEP_3)
	v_add_co_ci_u32_e32 v10, vcc_lo, v10, v23, vcc_lo
	v_add_co_u32 v4, vcc_lo, v4, v22
	v_add_co_ci_u32_e32 v5, vcc_lo, v5, v23, vcc_lo
	v_div_scale_f32 v25, vcc_lo, v13, v11, v13
	global_load_b128 v[14:17], v[9:10], off
	global_load_b128 v[18:21], v[4:5], off
	v_div_scale_f32 v4, null, v11, v11, v12
	v_rcp_f32_e32 v5, v1
	s_delay_alu instid0(VALU_DEP_1) | instskip(SKIP_3) | instid1(VALU_DEP_2)
	v_rcp_f32_e32 v9, v4
	s_waitcnt_depctr 0xfff
	v_fma_f32 v10, -v1, v5, 1.0
	v_fma_f32 v24, -v4, v9, 1.0
	v_fmac_f32_e32 v5, v10, v5
	v_div_scale_f32 v10, s0, v12, v11, v12
	s_delay_alu instid0(VALU_DEP_3) | instskip(NEXT) | instid1(VALU_DEP_3)
	v_fmac_f32_e32 v9, v24, v9
	v_mul_f32_e32 v24, v25, v5
	s_delay_alu instid0(VALU_DEP_1) | instskip(NEXT) | instid1(VALU_DEP_1)
	v_fma_f32 v27, -v1, v24, v25
	v_fmac_f32_e32 v24, v27, v5
	s_delay_alu instid0(VALU_DEP_1) | instskip(NEXT) | instid1(VALU_DEP_1)
	v_fma_f32 v1, -v1, v24, v25
	v_div_fmas_f32 v1, v1, v5, v24
	s_mov_b32 vcc_lo, s0
	s_delay_alu instid0(VALU_DEP_1) | instskip(SKIP_1) | instid1(VALU_DEP_1)
	v_div_fixup_f32 v1, v1, v11, v13
	s_waitcnt vmcnt(1)
	v_dual_mul_f32 v26, v10, v9 :: v_dual_mul_f32 v13, v1, v15
	s_delay_alu instid0(VALU_DEP_1) | instskip(NEXT) | instid1(VALU_DEP_1)
	v_fma_f32 v28, -v4, v26, v10
	v_fmac_f32_e32 v26, v28, v9
	s_delay_alu instid0(VALU_DEP_1) | instskip(NEXT) | instid1(VALU_DEP_1)
	v_fma_f32 v4, -v4, v26, v10
	v_div_fmas_f32 v4, v4, v9, v26
	s_delay_alu instid0(VALU_DEP_1)
	v_div_fixup_f32 v4, v4, v11, v12
	v_mul_f32_e32 v12, v1, v14
	v_mul_f32_e32 v14, v1, v16
	;; [unrolled: 1-line block ×3, first 2 shown]
	s_waitcnt vmcnt(0)
	v_fmac_f32_e32 v13, v4, v19
	v_fmac_f32_e32 v12, v4, v18
	;; [unrolled: 1-line block ×4, first 2 shown]
	v_add_co_u32 v4, vcc_lo, v6, v22
	v_add_co_ci_u32_e32 v5, vcc_lo, v7, v23, vcc_lo
	global_store_b128 v[4:5], v[12:15], off
.LBB2_11:
	s_or_b32 exec_lo, exec_lo, s2
	v_cmp_eq_u32_e32 vcc_lo, 0, v0
	s_cmp_lg_u64 s[6:7], 0
	s_cselect_b32 s0, -1, 0
	s_delay_alu instid0(SALU_CYCLE_1) | instskip(NEXT) | instid1(SALU_CYCLE_1)
	s_and_b32 s0, s0, vcc_lo
	s_and_saveexec_b32 s2, s0
	s_cbranch_execz .LBB2_13
; %bb.12:
	v_cmp_gt_f32_e32 vcc_lo, 0x800000, v11
	v_cndmask_b32_e64 v0, 1.0, 0x4f800000, vcc_lo
	s_delay_alu instid0(VALU_DEP_1) | instskip(NEXT) | instid1(VALU_DEP_1)
	v_mul_f32_e32 v0, v11, v0
	v_log_f32_e32 v0, v0
	s_waitcnt_depctr 0xfff
	v_mul_f32_e32 v1, 0x3f317217, v0
	v_cmp_gt_f32_e64 s0, 0x7f800000, |v0|
	s_delay_alu instid0(VALU_DEP_2) | instskip(NEXT) | instid1(VALU_DEP_1)
	v_fma_f32 v4, 0x3f317217, v0, -v1
	v_fmamk_f32 v4, v0, 0x3377d1cf, v4
	s_delay_alu instid0(VALU_DEP_1) | instskip(NEXT) | instid1(VALU_DEP_1)
	v_add_f32_e32 v1, v1, v4
	v_cndmask_b32_e64 v0, v0, v1, s0
	v_cndmask_b32_e64 v1, 0, 0x41b17218, vcc_lo
	s_delay_alu instid0(VALU_DEP_1) | instskip(SKIP_2) | instid1(VALU_DEP_3)
	v_sub_f32_e32 v4, v0, v1
	v_add_co_u32 v0, vcc_lo, s6, v2
	v_add_co_ci_u32_e32 v1, vcc_lo, s7, v3, vcc_lo
	v_add_f32_e32 v2, v8, v4
	global_store_b32 v[0:1], v2, off
.LBB2_13:
	s_or_b32 exec_lo, exec_lo, s2
                                        ; implicit-def: $vgpr0
                                        ; implicit-def: $vgpr2_vgpr3
                                        ; implicit-def: $vgpr8
                                        ; implicit-def: $vgpr1
                                        ; implicit-def: $vgpr6
                                        ; implicit-def: $vgpr7
                                        ; implicit-def: $vgpr4
                                        ; implicit-def: $vgpr5
.LBB2_14:
	s_and_not1_saveexec_b32 s0, s1
	s_cbranch_execz .LBB2_19
; %bb.15:
	s_mov_b32 s0, exec_lo
	v_cmpx_gt_u32_e64 s18, v1
	s_cbranch_execz .LBB2_17
; %bb.16:
	v_mov_b32_e32 v1, 0
	s_delay_alu instid0(VALU_DEP_1) | instskip(NEXT) | instid1(VALU_DEP_1)
	v_lshlrev_b64 v[13:14], 4, v[0:1]
	v_add_co_u32 v4, vcc_lo, v4, v13
	s_delay_alu instid0(VALU_DEP_2)
	v_add_co_ci_u32_e32 v5, vcc_lo, v5, v14, vcc_lo
	global_load_b128 v[9:12], v[4:5], off
	v_add_co_u32 v4, vcc_lo, v6, v13
	v_add_co_ci_u32_e32 v5, vcc_lo, v7, v14, vcc_lo
	s_waitcnt vmcnt(0)
	global_store_b128 v[4:5], v[9:12], off
.LBB2_17:
	s_or_b32 exec_lo, exec_lo, s0
	v_cmp_eq_u32_e32 vcc_lo, 0, v0
	s_cmp_lg_u64 s[6:7], 0
	s_cselect_b32 s0, -1, 0
	s_delay_alu instid0(SALU_CYCLE_1) | instskip(NEXT) | instid1(SALU_CYCLE_1)
	s_and_b32 s0, s0, vcc_lo
	s_and_saveexec_b32 s1, s0
	s_cbranch_execz .LBB2_19
; %bb.18:
	v_add_co_u32 v0, vcc_lo, s6, v2
	v_add_co_ci_u32_e32 v1, vcc_lo, s7, v3, vcc_lo
	global_store_b32 v[0:1], v8, off
.LBB2_19:
	s_nop 0
	s_sendmsg sendmsg(MSG_DEALLOC_VGPRS)
	s_endpgm
	.section	.rodata,"a",@progbits
	.p2align	6, 0x0
	.amdhsa_kernel _ZN4vllm24merge_attn_states_kernelIffLj128ELb0EEEvPT0_PfPKT_PKfS6_S8_jjjjjjS8_
		.amdhsa_group_segment_fixed_size 0
		.amdhsa_private_segment_fixed_size 0
		.amdhsa_kernarg_size 80
		.amdhsa_user_sgpr_count 15
		.amdhsa_user_sgpr_dispatch_ptr 0
		.amdhsa_user_sgpr_queue_ptr 0
		.amdhsa_user_sgpr_kernarg_segment_ptr 1
		.amdhsa_user_sgpr_dispatch_id 0
		.amdhsa_user_sgpr_private_segment_size 0
		.amdhsa_wavefront_size32 1
		.amdhsa_uses_dynamic_stack 0
		.amdhsa_enable_private_segment 0
		.amdhsa_system_sgpr_workgroup_id_x 1
		.amdhsa_system_sgpr_workgroup_id_y 0
		.amdhsa_system_sgpr_workgroup_id_z 0
		.amdhsa_system_sgpr_workgroup_info 0
		.amdhsa_system_vgpr_workitem_id 0
		.amdhsa_next_free_vgpr 29
		.amdhsa_next_free_sgpr 20
		.amdhsa_reserve_vcc 1
		.amdhsa_float_round_mode_32 0
		.amdhsa_float_round_mode_16_64 0
		.amdhsa_float_denorm_mode_32 3
		.amdhsa_float_denorm_mode_16_64 3
		.amdhsa_dx10_clamp 1
		.amdhsa_ieee_mode 1
		.amdhsa_fp16_overflow 0
		.amdhsa_workgroup_processor_mode 1
		.amdhsa_memory_ordered 1
		.amdhsa_forward_progress 0
		.amdhsa_shared_vgpr_count 0
		.amdhsa_exception_fp_ieee_invalid_op 0
		.amdhsa_exception_fp_denorm_src 0
		.amdhsa_exception_fp_ieee_div_zero 0
		.amdhsa_exception_fp_ieee_overflow 0
		.amdhsa_exception_fp_ieee_underflow 0
		.amdhsa_exception_fp_ieee_inexact 0
		.amdhsa_exception_int_div_zero 0
	.end_amdhsa_kernel
	.section	.text._ZN4vllm24merge_attn_states_kernelIffLj128ELb0EEEvPT0_PfPKT_PKfS6_S8_jjjjjjS8_,"axG",@progbits,_ZN4vllm24merge_attn_states_kernelIffLj128ELb0EEEvPT0_PfPKT_PKfS6_S8_jjjjjjS8_,comdat
.Lfunc_end2:
	.size	_ZN4vllm24merge_attn_states_kernelIffLj128ELb0EEEvPT0_PfPKT_PKfS6_S8_jjjjjjS8_, .Lfunc_end2-_ZN4vllm24merge_attn_states_kernelIffLj128ELb0EEEvPT0_PfPKT_PKfS6_S8_jjjjjjS8_
                                        ; -- End function
	.section	.AMDGPU.csdata,"",@progbits
; Kernel info:
; codeLenInByte = 1676
; NumSgprs: 22
; NumVgprs: 29
; ScratchSize: 0
; MemoryBound: 1
; FloatMode: 240
; IeeeMode: 1
; LDSByteSize: 0 bytes/workgroup (compile time only)
; SGPRBlocks: 2
; VGPRBlocks: 3
; NumSGPRsForWavesPerEU: 22
; NumVGPRsForWavesPerEU: 29
; Occupancy: 16
; WaveLimiterHint : 0
; COMPUTE_PGM_RSRC2:SCRATCH_EN: 0
; COMPUTE_PGM_RSRC2:USER_SGPR: 15
; COMPUTE_PGM_RSRC2:TRAP_HANDLER: 0
; COMPUTE_PGM_RSRC2:TGID_X_EN: 1
; COMPUTE_PGM_RSRC2:TGID_Y_EN: 0
; COMPUTE_PGM_RSRC2:TGID_Z_EN: 0
; COMPUTE_PGM_RSRC2:TIDIG_COMP_CNT: 0
	.section	.text._ZN4vllm24merge_attn_states_kernelItN3c1013Float8_e4m3fnELj128ELb1EEEvPT0_PfPKT_PKfS8_SA_jjjjjjSA_,"axG",@progbits,_ZN4vllm24merge_attn_states_kernelItN3c1013Float8_e4m3fnELj128ELb1EEEvPT0_PfPKT_PKfS8_SA_jjjjjjSA_,comdat
	.protected	_ZN4vllm24merge_attn_states_kernelItN3c1013Float8_e4m3fnELj128ELb1EEEvPT0_PfPKT_PKfS8_SA_jjjjjjSA_ ; -- Begin function _ZN4vllm24merge_attn_states_kernelItN3c1013Float8_e4m3fnELj128ELb1EEEvPT0_PfPKT_PKfS8_SA_jjjjjjSA_
	.globl	_ZN4vllm24merge_attn_states_kernelItN3c1013Float8_e4m3fnELj128ELb1EEEvPT0_PfPKT_PKfS8_SA_jjjjjjSA_
	.p2align	8
	.type	_ZN4vllm24merge_attn_states_kernelItN3c1013Float8_e4m3fnELj128ELb1EEEvPT0_PfPKT_PKfS8_SA_jjjjjjSA_,@function
_ZN4vllm24merge_attn_states_kernelItN3c1013Float8_e4m3fnELj128ELb1EEEvPT0_PfPKT_PKfS8_SA_jjjjjjSA_: ; @_ZN4vllm24merge_attn_states_kernelItN3c1013Float8_e4m3fnELj128ELb1EEEvPT0_PfPKT_PKfS8_SA_jjjjjjSA_
; %bb.0:
	s_load_b128 s[16:19], s[0:1], 0x30
	v_lshl_add_u32 v0, s15, 7, v0
	s_waitcnt lgkmcnt(0)
	s_lshr_b32 s2, s18, 3
	s_mul_i32 s3, s17, s16
	s_delay_alu instid0(SALU_CYCLE_1) | instskip(NEXT) | instid1(SALU_CYCLE_1)
	s_mul_i32 s3, s3, s2
	v_cmp_gt_u32_e32 vcc_lo, s3, v0
	s_and_saveexec_b32 s3, vcc_lo
	s_cbranch_execz .LBB3_403
; %bb.1:
	v_cvt_f32_u32_e32 v1, s2
	v_cvt_f32_u32_e32 v3, s17
	s_sub_i32 s3, 0, s2
	s_clause 0x1
	s_load_b128 s[20:23], s[0:1], 0x40
	s_load_b128 s[12:15], s[0:1], 0x20
	v_rcp_iflag_f32_e32 v1, v1
	v_rcp_iflag_f32_e32 v3, v3
	s_sub_i32 s4, 0, s17
	s_waitcnt_depctr 0xfff
	v_mul_f32_e32 v1, 0x4f7ffffe, v1
	s_delay_alu instid0(VALU_DEP_1) | instskip(NEXT) | instid1(VALU_DEP_1)
	v_cvt_u32_f32_e32 v1, v1
	v_mul_lo_u32 v2, s3, v1
	s_waitcnt lgkmcnt(0)
	s_load_b32 s3, s[22:23], 0x0
	s_delay_alu instid0(VALU_DEP_1) | instskip(NEXT) | instid1(VALU_DEP_1)
	v_mul_hi_u32 v2, v1, v2
	v_dual_mul_f32 v2, 0x4f7ffffe, v3 :: v_dual_add_nc_u32 v1, v1, v2
	s_waitcnt lgkmcnt(0)
	v_div_scale_f32 v6, null, s3, s3, 1.0
	s_delay_alu instid0(VALU_DEP_2) | instskip(NEXT) | instid1(VALU_DEP_3)
	v_mul_hi_u32 v1, v0, v1
	v_cvt_u32_f32_e32 v2, v2
	s_delay_alu instid0(VALU_DEP_1) | instskip(SKIP_1) | instid1(VALU_DEP_3)
	v_mul_lo_u32 v4, s4, v2
	s_load_b256 s[4:11], s[0:1], 0x0
	v_mul_lo_u32 v3, v1, s2
	v_add_nc_u32_e32 v5, 1, v1
	s_delay_alu instid0(VALU_DEP_3) | instskip(NEXT) | instid1(VALU_DEP_3)
	v_mul_hi_u32 v4, v2, v4
	v_sub_nc_u32_e32 v3, v0, v3
	s_delay_alu instid0(VALU_DEP_1) | instskip(SKIP_1) | instid1(VALU_DEP_4)
	v_subrev_nc_u32_e32 v7, s2, v3
	v_cmp_le_u32_e32 vcc_lo, s2, v3
	v_dual_cndmask_b32 v1, v1, v5 :: v_dual_add_nc_u32 v2, v2, v4
	s_delay_alu instid0(VALU_DEP_3) | instskip(SKIP_1) | instid1(VALU_DEP_2)
	v_cndmask_b32_e32 v3, v3, v7, vcc_lo
	v_rcp_f32_e32 v5, v6
	v_add_nc_u32_e32 v7, 1, v1
	s_delay_alu instid0(VALU_DEP_2) | instskip(NEXT) | instid1(VALU_DEP_2)
	v_cmp_le_u32_e32 vcc_lo, s2, v3
	v_cndmask_b32_e32 v7, v1, v7, vcc_lo
	s_waitcnt_depctr 0xfff
	v_fma_f32 v1, -v6, v5, 1.0
	v_div_scale_f32 v3, vcc_lo, 1.0, s3, 1.0
	v_mul_hi_u32 v2, v7, v2
	s_delay_alu instid0(VALU_DEP_3) | instskip(NEXT) | instid1(VALU_DEP_1)
	v_fmac_f32_e32 v5, v1, v5
	v_mul_f32_e32 v4, v3, v5
	s_delay_alu instid0(VALU_DEP_3) | instskip(SKIP_1) | instid1(VALU_DEP_3)
	v_mul_lo_u32 v1, v2, s17
	v_add_nc_u32_e32 v9, 1, v2
	v_fma_f32 v8, -v6, v4, v3
	s_delay_alu instid0(VALU_DEP_3) | instskip(NEXT) | instid1(VALU_DEP_2)
	v_sub_nc_u32_e32 v1, v7, v1
	v_fmac_f32_e32 v4, v8, v5
	s_delay_alu instid0(VALU_DEP_2) | instskip(SKIP_1) | instid1(VALU_DEP_3)
	v_subrev_nc_u32_e32 v8, s17, v1
	v_cmp_le_u32_e64 s0, s17, v1
	v_fma_f32 v3, -v6, v4, v3
	s_delay_alu instid0(VALU_DEP_2) | instskip(NEXT) | instid1(VALU_DEP_4)
	v_cndmask_b32_e64 v9, v2, v9, s0
	v_cndmask_b32_e64 v6, v1, v8, s0
	v_mov_b32_e32 v2, 0
	s_delay_alu instid0(VALU_DEP_4) | instskip(NEXT) | instid1(VALU_DEP_4)
	v_div_fmas_f32 v3, v3, v5, v4
	v_add_nc_u32_e32 v8, 1, v9
	s_delay_alu instid0(VALU_DEP_4)
	v_cmp_le_u32_e64 s0, s17, v6
	v_mul_lo_u32 v10, v7, s2
	v_mul_lo_u32 v1, v7, s19
	;; [unrolled: 1-line block ×3, first 2 shown]
	v_div_fixup_f32 v17, v3, s3, 1.0
	v_cndmask_b32_e64 v6, v9, v8, s0
	v_sub_nc_u32_e32 v4, v0, v10
	v_lshlrev_b64 v[0:1], 1, v[1:2]
	s_delay_alu instid0(VALU_DEP_3) | instskip(SKIP_2) | instid1(VALU_DEP_1)
	v_mul_lo_u32 v8, v6, s17
	s_waitcnt lgkmcnt(0)
	v_add_co_u32 v18, s0, s4, v11
	v_add_co_ci_u32_e64 v19, null, s5, 0, s0
	s_delay_alu instid0(VALU_DEP_4)
	v_add_co_u32 v2, vcc_lo, s12, v0
	v_lshlrev_b32_e32 v5, 3, v4
	v_add_co_ci_u32_e32 v3, vcc_lo, s13, v1, vcc_lo
	v_sub_nc_u32_e32 v20, v7, v8
	s_mov_b32 s0, exec_lo
	v_cmpx_le_u32_e64 s21, v6
	s_xor_b32 s2, exec_lo, s0
	s_cbranch_execz .LBB3_135
; %bb.2:
	s_mov_b32 s3, exec_lo
	v_cmpx_gt_u32_e64 s18, v5
	s_cbranch_execz .LBB3_132
; %bb.3:
	v_mov_b32_e32 v5, 0
	s_mov_b32 s0, 0x43e00000
	s_delay_alu instid0(VALU_DEP_1) | instskip(NEXT) | instid1(VALU_DEP_1)
	v_lshlrev_b64 v[0:1], 4, v[4:5]
	v_add_co_u32 v0, vcc_lo, v2, v0
	s_delay_alu instid0(VALU_DEP_2) | instskip(SKIP_4) | instid1(VALU_DEP_1)
	v_add_co_ci_u32_e32 v1, vcc_lo, v3, v1, vcc_lo
	global_load_b128 v[0:3], v[0:1], off
	s_waitcnt vmcnt(0)
	v_and_b32_e32 v7, 0xffff, v0
	;;#ASMSTART
	v_cvt_f32_f16 v7, v7;
	;;#ASMEND
	v_mul_f32_e32 v7, v17, v7
	s_delay_alu instid0(VALU_DEP_1) | instskip(SKIP_1) | instid1(VALU_DEP_1)
	v_minmax_f32 v12, v7, s0, 0xc3e00000
	s_mov_b32 s0, exec_lo
	v_lshrrev_b32_e32 v8, 24, v12
	v_and_b32_e32 v13, 0x7f800000, v12
	v_and_b32_e32 v10, 0x7fffff, v12
	v_mov_b32_e32 v14, v5
	v_mov_b32_e32 v11, v5
	v_and_b32_e32 v9, 0x80, v8
	s_delay_alu instid0(VALU_DEP_1) | instskip(NEXT) | instid1(VALU_DEP_4)
	v_or_b32_e32 v7, 0x7e, v9
	v_cmpx_ne_u64_e32 0x7f800000, v[13:14]
	s_xor_b32 s4, exec_lo, s0
	s_cbranch_execz .LBB3_17
; %bb.4:
	v_dual_mov_b32 v14, v5 :: v_dual_and_b32 v13, 0x7fffffff, v12
	s_mov_b32 s0, exec_lo
	s_delay_alu instid0(VALU_DEP_1)
	v_cmpx_gt_u64_e32 0x43e00001, v[13:14]
	s_xor_b32 s5, exec_lo, s0
	s_cbranch_execz .LBB3_16
; %bb.5:
	s_mov_b32 s12, exec_lo
	v_mov_b32_e32 v7, 0
	v_mov_b32_e32 v8, 0
	v_cmpx_ne_u32_e32 0, v12
	s_cbranch_execz .LBB3_15
; %bb.6:
	v_bfe_u32 v21, v12, 23, 8
	v_mov_b32_e32 v12, 0
	s_delay_alu instid0(VALU_DEP_2) | instskip(SKIP_1) | instid1(VALU_DEP_2)
	v_sub_nc_u32_e64 v7, 0x79, v21 clamp
	v_cmp_eq_u32_e32 vcc_lo, 0, v21
	v_cndmask_b32_e64 v22, v7, 0x78, vcc_lo
	v_or_b32_e32 v7, 0x800000, v10
	s_delay_alu instid0(VALU_DEP_2) | instskip(NEXT) | instid1(VALU_DEP_2)
	v_add_nc_u32_e32 v8, 20, v22
	v_cndmask_b32_e32 v10, v7, v10, vcc_lo
	v_add_nc_u32_e32 v13, 19, v22
	s_delay_alu instid0(VALU_DEP_3) | instskip(NEXT) | instid1(VALU_DEP_3)
	v_lshlrev_b64 v[7:8], v8, -1
	v_lshrrev_b64 v[15:16], v22, v[10:11]
	s_delay_alu instid0(VALU_DEP_2) | instskip(NEXT) | instid1(VALU_DEP_3)
	v_not_b32_e32 v14, v8
	v_not_b32_e32 v23, v7
	v_lshlrev_b64 v[7:8], v13, 1
	s_delay_alu instid0(VALU_DEP_4) | instskip(NEXT) | instid1(VALU_DEP_4)
	v_and_b32_e32 v11, 0x100000, v15
	v_and_b32_e32 v14, 0, v14
	s_delay_alu instid0(VALU_DEP_4) | instskip(SKIP_1) | instid1(VALU_DEP_4)
	v_and_b32_e32 v13, v10, v23
	v_add_nc_u32_e32 v10, 0xffffff88, v21
	v_cmp_eq_u64_e64 s0, 0, v[11:12]
	s_delay_alu instid0(VALU_DEP_3) | instskip(NEXT) | instid1(VALU_DEP_3)
	v_cmp_eq_u64_e64 s1, v[13:14], v[7:8]
	v_cndmask_b32_e64 v7, v10, 0xffffff89, vcc_lo
	v_lshrrev_b32_e32 v8, 23, v15
                                        ; implicit-def: $vgpr13
	s_delay_alu instid0(VALU_DEP_3) | instskip(NEXT) | instid1(VALU_DEP_1)
	s_and_b32 vcc_lo, s0, s1
	v_add3_u32 v10, v7, v22, v8
	v_subrev_co_ci_u32_e32 v11, vcc_lo, 0, v15, vcc_lo
	s_mov_b32 s0, exec_lo
	s_delay_alu instid0(VALU_DEP_2) | instskip(NEXT) | instid1(VALU_DEP_2)
	v_add_nc_u32_e32 v14, -1, v10
	v_and_b32_e32 v7, 0xfffff, v11
	s_delay_alu instid0(VALU_DEP_1) | instskip(SKIP_1) | instid1(VALU_DEP_4)
	v_add_co_u32 v7, vcc_lo, v7, v15
	v_add_co_ci_u32_e32 v8, vcc_lo, 0, v16, vcc_lo
	v_cmpx_ne_u32_e32 0, v14
	s_xor_b32 s0, exec_lo, s0
; %bb.7:
	s_delay_alu instid0(VALU_DEP_3) | instskip(SKIP_1) | instid1(VALU_DEP_2)
	v_and_b32_e32 v11, 0x1000000, v7
	v_bfe_u32 v13, v7, 24, 1
	v_cmp_eq_u64_e32 vcc_lo, 0, v[11:12]
	s_delay_alu instid0(VALU_DEP_2)
	v_lshrrev_b64 v[7:8], v13, v[7:8]
	v_cndmask_b32_e32 v13, v10, v14, vcc_lo
; %bb.8:
	s_and_not1_saveexec_b32 s0, s0
; %bb.9:
	s_delay_alu instid0(VALU_DEP_2)
	v_bfe_u32 v13, v7, 23, 1
; %bb.10:
	s_or_b32 exec_lo, exec_lo, s0
	s_delay_alu instid0(VALU_DEP_3) | instskip(NEXT) | instid1(VALU_DEP_2)
	v_lshrrev_b64 v[7:8], 20, v[7:8]
	v_cmp_gt_i32_e32 vcc_lo, 16, v13
	v_cmp_ne_u32_e64 s0, 0, v13
	s_delay_alu instid0(VALU_DEP_3) | instskip(NEXT) | instid1(VALU_DEP_1)
	v_dual_cndmask_b32 v11, 0, v8 :: v_dual_cndmask_b32 v10, 7, v7
                                        ; implicit-def: $vgpr7_vgpr8
	v_cmp_ne_u64_e32 vcc_lo, 0, v[10:11]
	s_delay_alu instid0(VALU_DEP_3) | instskip(NEXT) | instid1(SALU_CYCLE_1)
	s_or_b32 s0, s0, vcc_lo
	s_and_saveexec_b32 s1, s0
	s_delay_alu instid0(SALU_CYCLE_1)
	s_xor_b32 s0, exec_lo, s1
; %bb.11:
	v_min_i32_e32 v7, 15, v13
	s_delay_alu instid0(VALU_DEP_1) | instskip(NEXT) | instid1(VALU_DEP_1)
	v_lshl_or_b32 v7, v7, 3, v9
                                        ; implicit-def: $vgpr9
	v_and_or_b32 v7, v10, 7, v7
; %bb.12:
	s_and_not1_saveexec_b32 s0, s0
; %bb.13:
	v_dual_mov_b32 v7, v9 :: v_dual_mov_b32 v8, v10
; %bb.14:
	s_or_b32 exec_lo, exec_lo, s0
.LBB3_15:
	s_delay_alu instid0(SALU_CYCLE_1)
	s_or_b32 exec_lo, exec_lo, s12
.LBB3_16:
	s_and_not1_saveexec_b32 s0, s5
	s_delay_alu instid0(SALU_CYCLE_1)
	s_or_b32 exec_lo, exec_lo, s0
                                        ; implicit-def: $vgpr8
                                        ; implicit-def: $vgpr10_vgpr11
.LBB3_17:
	s_and_not1_saveexec_b32 s0, s4
; %bb.18:
	v_cmp_eq_u64_e32 vcc_lo, 0, v[10:11]
	v_or_b32_e32 v8, 0x7f, v8
	s_delay_alu instid0(VALU_DEP_1)
	v_cndmask_b32_e32 v7, v8, v7, vcc_lo
; %bb.19:
	s_or_b32 exec_lo, exec_lo, s0
	v_lshrrev_b32_e32 v0, 16, v0
	;;#ASMSTART
	v_cvt_f32_f16 v0, v0;
	;;#ASMEND
	s_delay_alu instid0(VALU_DEP_1)
	v_dual_mul_f32 v0, v17, v0 :: v_dual_mov_b32 v11, 0
	s_mov_b32 s0, 0x43e00000
	s_delay_alu instid0(VALU_DEP_1) | instid1(SALU_CYCLE_1)
	v_minmax_f32 v12, v0, s0, 0xc3e00000
	s_mov_b32 s0, exec_lo
	s_delay_alu instid0(VALU_DEP_2) | instskip(NEXT) | instid1(VALU_DEP_2)
	v_mov_b32_e32 v14, v11
	v_lshrrev_b32_e32 v9, 24, v12
	v_and_b32_e32 v13, 0x7f800000, v12
	v_and_b32_e32 v10, 0x7fffff, v12
	s_delay_alu instid0(VALU_DEP_3) | instskip(NEXT) | instid1(VALU_DEP_1)
	v_and_b32_e32 v0, 0x80, v9
	v_or_b32_e32 v8, 0x7e, v0
	s_delay_alu instid0(VALU_DEP_4)
	v_cmpx_ne_u64_e32 0x7f800000, v[13:14]
	s_xor_b32 s4, exec_lo, s0
	s_cbranch_execz .LBB3_33
; %bb.20:
	v_dual_mov_b32 v14, v11 :: v_dual_and_b32 v13, 0x7fffffff, v12
	s_mov_b32 s0, exec_lo
	s_delay_alu instid0(VALU_DEP_1)
	v_cmpx_gt_u64_e32 0x43e00001, v[13:14]
	s_xor_b32 s5, exec_lo, s0
	s_cbranch_execz .LBB3_32
; %bb.21:
	s_mov_b32 s12, exec_lo
	v_mov_b32_e32 v8, 0
	v_mov_b32_e32 v9, 0
	v_cmpx_ne_u32_e32 0, v12
	s_cbranch_execz .LBB3_31
; %bb.22:
	v_bfe_u32 v21, v12, 23, 8
	v_mov_b32_e32 v12, 0
	s_delay_alu instid0(VALU_DEP_2) | instskip(SKIP_1) | instid1(VALU_DEP_2)
	v_sub_nc_u32_e64 v8, 0x79, v21 clamp
	v_cmp_eq_u32_e32 vcc_lo, 0, v21
	v_cndmask_b32_e64 v22, v8, 0x78, vcc_lo
	v_or_b32_e32 v8, 0x800000, v10
	s_delay_alu instid0(VALU_DEP_2) | instskip(NEXT) | instid1(VALU_DEP_2)
	v_add_nc_u32_e32 v9, 20, v22
	v_cndmask_b32_e32 v10, v8, v10, vcc_lo
	v_add_nc_u32_e32 v13, 19, v22
	s_delay_alu instid0(VALU_DEP_3) | instskip(NEXT) | instid1(VALU_DEP_3)
	v_lshlrev_b64 v[8:9], v9, -1
	v_lshrrev_b64 v[15:16], v22, v[10:11]
	s_delay_alu instid0(VALU_DEP_2) | instskip(NEXT) | instid1(VALU_DEP_2)
	v_not_b32_e32 v14, v9
	v_and_b32_e32 v11, 0x100000, v15
	s_delay_alu instid0(VALU_DEP_4) | instskip(SKIP_1) | instid1(VALU_DEP_4)
	v_not_b32_e32 v23, v8
	v_lshlrev_b64 v[8:9], v13, 1
	v_and_b32_e32 v14, 0, v14
	s_delay_alu instid0(VALU_DEP_4) | instskip(NEXT) | instid1(VALU_DEP_4)
	v_cmp_eq_u64_e64 s0, 0, v[11:12]
	v_and_b32_e32 v13, v10, v23
	v_add_nc_u32_e32 v10, 0xffffff88, v21
	s_delay_alu instid0(VALU_DEP_2) | instskip(NEXT) | instid1(VALU_DEP_2)
	v_cmp_eq_u64_e64 s1, v[13:14], v[8:9]
	v_cndmask_b32_e64 v8, v10, 0xffffff89, vcc_lo
	v_lshrrev_b32_e32 v9, 23, v15
                                        ; implicit-def: $vgpr13
	s_delay_alu instid0(VALU_DEP_3) | instskip(NEXT) | instid1(VALU_DEP_1)
	s_and_b32 vcc_lo, s0, s1
	v_add3_u32 v10, v8, v22, v9
	v_subrev_co_ci_u32_e32 v11, vcc_lo, 0, v15, vcc_lo
	s_mov_b32 s0, exec_lo
	s_delay_alu instid0(VALU_DEP_2) | instskip(NEXT) | instid1(VALU_DEP_2)
	v_add_nc_u32_e32 v14, -1, v10
	v_and_b32_e32 v8, 0xfffff, v11
	s_delay_alu instid0(VALU_DEP_1) | instskip(SKIP_1) | instid1(VALU_DEP_4)
	v_add_co_u32 v8, vcc_lo, v8, v15
	v_add_co_ci_u32_e32 v9, vcc_lo, 0, v16, vcc_lo
	v_cmpx_ne_u32_e32 0, v14
	s_xor_b32 s0, exec_lo, s0
; %bb.23:
	s_delay_alu instid0(VALU_DEP_3) | instskip(SKIP_1) | instid1(VALU_DEP_2)
	v_and_b32_e32 v11, 0x1000000, v8
	v_bfe_u32 v13, v8, 24, 1
	v_cmp_eq_u64_e32 vcc_lo, 0, v[11:12]
	s_delay_alu instid0(VALU_DEP_2)
	v_lshrrev_b64 v[8:9], v13, v[8:9]
	v_cndmask_b32_e32 v13, v10, v14, vcc_lo
; %bb.24:
	s_and_not1_saveexec_b32 s0, s0
; %bb.25:
	s_delay_alu instid0(VALU_DEP_2)
	v_bfe_u32 v13, v8, 23, 1
; %bb.26:
	s_or_b32 exec_lo, exec_lo, s0
	s_delay_alu instid0(VALU_DEP_3) | instskip(NEXT) | instid1(VALU_DEP_2)
	v_lshrrev_b64 v[8:9], 20, v[8:9]
	v_cmp_gt_i32_e32 vcc_lo, 16, v13
	v_cmp_ne_u32_e64 s0, 0, v13
	s_delay_alu instid0(VALU_DEP_3) | instskip(NEXT) | instid1(VALU_DEP_1)
	v_dual_cndmask_b32 v11, 0, v9 :: v_dual_cndmask_b32 v10, 7, v8
                                        ; implicit-def: $vgpr8_vgpr9
	v_cmp_ne_u64_e32 vcc_lo, 0, v[10:11]
	s_delay_alu instid0(VALU_DEP_3) | instskip(NEXT) | instid1(SALU_CYCLE_1)
	s_or_b32 s0, s0, vcc_lo
	s_and_saveexec_b32 s1, s0
	s_delay_alu instid0(SALU_CYCLE_1)
	s_xor_b32 s0, exec_lo, s1
; %bb.27:
	v_min_i32_e32 v8, 15, v13
	s_delay_alu instid0(VALU_DEP_1) | instskip(NEXT) | instid1(VALU_DEP_1)
	v_lshl_or_b32 v0, v8, 3, v0
	v_and_or_b32 v8, v10, 7, v0
                                        ; implicit-def: $vgpr0
; %bb.28:
	s_and_not1_saveexec_b32 s0, s0
; %bb.29:
	v_dual_mov_b32 v9, v1 :: v_dual_mov_b32 v8, v0
; %bb.30:
	s_or_b32 exec_lo, exec_lo, s0
.LBB3_31:
	s_delay_alu instid0(SALU_CYCLE_1)
	s_or_b32 exec_lo, exec_lo, s12
.LBB3_32:
	s_and_not1_saveexec_b32 s0, s5
	s_delay_alu instid0(SALU_CYCLE_1)
	s_or_b32 exec_lo, exec_lo, s0
                                        ; implicit-def: $vgpr9
                                        ; implicit-def: $vgpr10_vgpr11
.LBB3_33:
	s_and_not1_saveexec_b32 s0, s4
; %bb.34:
	v_cmp_eq_u64_e32 vcc_lo, 0, v[10:11]
	v_or_b32_e32 v0, 0x7f, v9
	s_delay_alu instid0(VALU_DEP_1)
	v_cndmask_b32_e32 v8, v0, v8, vcc_lo
; %bb.35:
	s_or_b32 exec_lo, exec_lo, s0
	v_mov_b32_e32 v12, 0
	v_and_b32_e32 v0, 0xffff, v1
	s_mov_b32 s0, 0x43e00000
	s_delay_alu instid0(VALU_DEP_2) | instskip(SKIP_1) | instid1(VALU_DEP_2)
	v_mov_b32_e32 v15, v12
	;;#ASMSTART
	v_cvt_f32_f16 v0, v0;
	;;#ASMEND
	v_mul_f32_e32 v0, v17, v0
	s_delay_alu instid0(VALU_DEP_1) | instskip(SKIP_1) | instid1(VALU_DEP_1)
	v_minmax_f32 v13, v0, s0, 0xc3e00000
	s_mov_b32 s0, exec_lo
	v_and_b32_e32 v11, 0x7fffff, v13
	v_lshrrev_b32_e32 v10, 24, v13
	v_and_b32_e32 v14, 0x7f800000, v13
	s_delay_alu instid0(VALU_DEP_2) | instskip(NEXT) | instid1(VALU_DEP_1)
	v_and_b32_e32 v0, 0x80, v10
	v_or_b32_e32 v9, 0x7e, v0
	s_delay_alu instid0(VALU_DEP_3)
	v_cmpx_ne_u64_e32 0x7f800000, v[14:15]
	s_xor_b32 s4, exec_lo, s0
	s_cbranch_execz .LBB3_49
; %bb.36:
	v_dual_mov_b32 v15, v12 :: v_dual_and_b32 v14, 0x7fffffff, v13
	s_mov_b32 s0, exec_lo
	s_delay_alu instid0(VALU_DEP_1)
	v_cmpx_gt_u64_e32 0x43e00001, v[14:15]
	s_xor_b32 s5, exec_lo, s0
	s_cbranch_execz .LBB3_48
; %bb.37:
	s_mov_b32 s12, exec_lo
	v_mov_b32_e32 v9, 0
	v_mov_b32_e32 v10, 0
	v_cmpx_ne_u32_e32 0, v13
	s_cbranch_execz .LBB3_47
; %bb.38:
	v_bfe_u32 v16, v13, 23, 8
	v_mov_b32_e32 v13, 0
	s_delay_alu instid0(VALU_DEP_2) | instskip(SKIP_1) | instid1(VALU_DEP_2)
	v_sub_nc_u32_e64 v9, 0x79, v16 clamp
	v_cmp_eq_u32_e32 vcc_lo, 0, v16
	v_cndmask_b32_e64 v23, v9, 0x78, vcc_lo
	v_or_b32_e32 v9, 0x800000, v11
	s_delay_alu instid0(VALU_DEP_2) | instskip(NEXT) | instid1(VALU_DEP_2)
	v_add_nc_u32_e32 v10, 20, v23
	v_cndmask_b32_e32 v11, v9, v11, vcc_lo
	v_add_nc_u32_e32 v14, 19, v23
	s_delay_alu instid0(VALU_DEP_3) | instskip(NEXT) | instid1(VALU_DEP_3)
	v_lshlrev_b64 v[9:10], v10, -1
	v_lshrrev_b64 v[21:22], v23, v[11:12]
	s_delay_alu instid0(VALU_DEP_2) | instskip(NEXT) | instid1(VALU_DEP_2)
	v_not_b32_e32 v15, v10
	v_and_b32_e32 v12, 0x100000, v21
	s_delay_alu instid0(VALU_DEP_4) | instskip(SKIP_1) | instid1(VALU_DEP_4)
	v_not_b32_e32 v24, v9
	v_lshlrev_b64 v[9:10], v14, 1
	v_and_b32_e32 v15, 0, v15
	s_delay_alu instid0(VALU_DEP_4) | instskip(NEXT) | instid1(VALU_DEP_4)
	v_cmp_eq_u64_e64 s0, 0, v[12:13]
	v_and_b32_e32 v14, v11, v24
	v_add_nc_u32_e32 v11, 0xffffff88, v16
	s_delay_alu instid0(VALU_DEP_2) | instskip(NEXT) | instid1(VALU_DEP_2)
	v_cmp_eq_u64_e64 s1, v[14:15], v[9:10]
	v_cndmask_b32_e64 v9, v11, 0xffffff89, vcc_lo
	v_lshrrev_b32_e32 v10, 23, v21
                                        ; implicit-def: $vgpr14
	s_delay_alu instid0(VALU_DEP_3) | instskip(NEXT) | instid1(VALU_DEP_1)
	s_and_b32 vcc_lo, s0, s1
	v_add3_u32 v11, v9, v23, v10
	v_subrev_co_ci_u32_e32 v12, vcc_lo, 0, v21, vcc_lo
	s_mov_b32 s0, exec_lo
	s_delay_alu instid0(VALU_DEP_2) | instskip(NEXT) | instid1(VALU_DEP_2)
	v_add_nc_u32_e32 v15, -1, v11
	v_and_b32_e32 v9, 0xfffff, v12
	s_delay_alu instid0(VALU_DEP_1) | instskip(SKIP_1) | instid1(VALU_DEP_4)
	v_add_co_u32 v9, vcc_lo, v9, v21
	v_add_co_ci_u32_e32 v10, vcc_lo, 0, v22, vcc_lo
	v_cmpx_ne_u32_e32 0, v15
	s_xor_b32 s0, exec_lo, s0
; %bb.39:
	s_delay_alu instid0(VALU_DEP_3) | instskip(SKIP_1) | instid1(VALU_DEP_2)
	v_and_b32_e32 v12, 0x1000000, v9
	v_bfe_u32 v14, v9, 24, 1
	v_cmp_eq_u64_e32 vcc_lo, 0, v[12:13]
	s_delay_alu instid0(VALU_DEP_2)
	v_lshrrev_b64 v[9:10], v14, v[9:10]
	v_cndmask_b32_e32 v14, v11, v15, vcc_lo
; %bb.40:
	s_and_not1_saveexec_b32 s0, s0
; %bb.41:
	s_delay_alu instid0(VALU_DEP_2)
	v_bfe_u32 v14, v9, 23, 1
; %bb.42:
	s_or_b32 exec_lo, exec_lo, s0
	s_delay_alu instid0(VALU_DEP_3) | instskip(NEXT) | instid1(VALU_DEP_2)
	v_lshrrev_b64 v[9:10], 20, v[9:10]
	v_cmp_gt_i32_e32 vcc_lo, 16, v14
	v_cmp_ne_u32_e64 s0, 0, v14
	s_delay_alu instid0(VALU_DEP_3) | instskip(NEXT) | instid1(VALU_DEP_1)
	v_dual_cndmask_b32 v12, 0, v10 :: v_dual_cndmask_b32 v11, 7, v9
                                        ; implicit-def: $vgpr9_vgpr10
	v_cmp_ne_u64_e32 vcc_lo, 0, v[11:12]
	s_delay_alu instid0(VALU_DEP_3) | instskip(NEXT) | instid1(SALU_CYCLE_1)
	s_or_b32 s0, s0, vcc_lo
	s_and_saveexec_b32 s1, s0
	s_delay_alu instid0(SALU_CYCLE_1)
	s_xor_b32 s0, exec_lo, s1
; %bb.43:
	v_min_i32_e32 v9, 15, v14
	s_delay_alu instid0(VALU_DEP_1) | instskip(NEXT) | instid1(VALU_DEP_1)
	v_lshl_or_b32 v0, v9, 3, v0
	v_and_or_b32 v9, v11, 7, v0
                                        ; implicit-def: $vgpr0
; %bb.44:
	s_and_not1_saveexec_b32 s0, s0
; %bb.45:
	v_dual_mov_b32 v10, v1 :: v_dual_mov_b32 v9, v0
; %bb.46:
	s_or_b32 exec_lo, exec_lo, s0
.LBB3_47:
	s_delay_alu instid0(SALU_CYCLE_1)
	s_or_b32 exec_lo, exec_lo, s12
.LBB3_48:
	s_and_not1_saveexec_b32 s0, s5
	s_delay_alu instid0(SALU_CYCLE_1)
	s_or_b32 exec_lo, exec_lo, s0
                                        ; implicit-def: $vgpr10
                                        ; implicit-def: $vgpr11_vgpr12
.LBB3_49:
	s_and_not1_saveexec_b32 s0, s4
; %bb.50:
	v_cmp_eq_u64_e32 vcc_lo, 0, v[11:12]
	v_or_b32_e32 v0, 0x7f, v10
	s_delay_alu instid0(VALU_DEP_1)
	v_cndmask_b32_e32 v9, v0, v9, vcc_lo
; %bb.51:
	s_or_b32 exec_lo, exec_lo, s0
	v_lshrrev_b32_e32 v0, 16, v1
	;;#ASMSTART
	v_cvt_f32_f16 v0, v0;
	;;#ASMEND
	v_mov_b32_e32 v12, 0
	s_delay_alu instid0(VALU_DEP_2) | instskip(SKIP_1) | instid1(VALU_DEP_2)
	v_mul_f32_e32 v0, v17, v0
	s_mov_b32 s0, 0x43e00000
	v_mov_b32_e32 v15, v12
	s_delay_alu instid0(VALU_DEP_2) | instskip(SKIP_1) | instid1(VALU_DEP_1)
	v_minmax_f32 v13, v0, s0, 0xc3e00000
	s_mov_b32 s0, exec_lo
	v_lshrrev_b32_e32 v1, 24, v13
	v_and_b32_e32 v14, 0x7f800000, v13
	v_and_b32_e32 v11, 0x7fffff, v13
	s_delay_alu instid0(VALU_DEP_3) | instskip(NEXT) | instid1(VALU_DEP_1)
	v_and_b32_e32 v10, 0x80, v1
	v_or_b32_e32 v0, 0x7e, v10
	s_delay_alu instid0(VALU_DEP_4)
	v_cmpx_ne_u64_e32 0x7f800000, v[14:15]
	s_xor_b32 s4, exec_lo, s0
	s_cbranch_execz .LBB3_65
; %bb.52:
	v_dual_mov_b32 v15, v12 :: v_dual_and_b32 v14, 0x7fffffff, v13
	s_mov_b32 s0, exec_lo
	s_delay_alu instid0(VALU_DEP_1)
	v_cmpx_gt_u64_e32 0x43e00001, v[14:15]
	s_xor_b32 s5, exec_lo, s0
	s_cbranch_execz .LBB3_64
; %bb.53:
	s_mov_b32 s12, exec_lo
	v_mov_b32_e32 v0, 0
	v_mov_b32_e32 v1, 0
	v_cmpx_ne_u32_e32 0, v13
	s_cbranch_execz .LBB3_63
; %bb.54:
	v_bfe_u32 v16, v13, 23, 8
	v_mov_b32_e32 v13, 0
	s_delay_alu instid0(VALU_DEP_2) | instskip(SKIP_1) | instid1(VALU_DEP_2)
	v_sub_nc_u32_e64 v0, 0x79, v16 clamp
	v_cmp_eq_u32_e32 vcc_lo, 0, v16
	v_cndmask_b32_e64 v23, v0, 0x78, vcc_lo
	v_or_b32_e32 v0, 0x800000, v11
	s_delay_alu instid0(VALU_DEP_2) | instskip(NEXT) | instid1(VALU_DEP_2)
	v_add_nc_u32_e32 v1, 20, v23
	v_cndmask_b32_e32 v11, v0, v11, vcc_lo
	v_add_nc_u32_e32 v14, 19, v23
	s_delay_alu instid0(VALU_DEP_3) | instskip(NEXT) | instid1(VALU_DEP_3)
	v_lshlrev_b64 v[0:1], v1, -1
	v_lshrrev_b64 v[21:22], v23, v[11:12]
	s_delay_alu instid0(VALU_DEP_2) | instskip(NEXT) | instid1(VALU_DEP_3)
	v_not_b32_e32 v15, v1
	v_not_b32_e32 v24, v0
	v_lshlrev_b64 v[0:1], v14, 1
	s_delay_alu instid0(VALU_DEP_4) | instskip(NEXT) | instid1(VALU_DEP_4)
	v_and_b32_e32 v12, 0x100000, v21
	v_and_b32_e32 v15, 0, v15
	s_delay_alu instid0(VALU_DEP_4) | instskip(SKIP_1) | instid1(VALU_DEP_4)
	v_and_b32_e32 v14, v11, v24
	v_add_nc_u32_e32 v11, 0xffffff88, v16
	v_cmp_eq_u64_e64 s0, 0, v[12:13]
	s_delay_alu instid0(VALU_DEP_3) | instskip(NEXT) | instid1(VALU_DEP_3)
	v_cmp_eq_u64_e64 s1, v[14:15], v[0:1]
	v_cndmask_b32_e64 v0, v11, 0xffffff89, vcc_lo
	v_lshrrev_b32_e32 v1, 23, v21
                                        ; implicit-def: $vgpr14
	s_delay_alu instid0(VALU_DEP_3) | instskip(NEXT) | instid1(VALU_DEP_1)
	s_and_b32 vcc_lo, s0, s1
	v_add3_u32 v11, v0, v23, v1
	v_subrev_co_ci_u32_e32 v12, vcc_lo, 0, v21, vcc_lo
	s_mov_b32 s0, exec_lo
	s_delay_alu instid0(VALU_DEP_2) | instskip(NEXT) | instid1(VALU_DEP_2)
	v_add_nc_u32_e32 v15, -1, v11
	v_and_b32_e32 v0, 0xfffff, v12
	s_delay_alu instid0(VALU_DEP_1) | instskip(SKIP_1) | instid1(VALU_DEP_4)
	v_add_co_u32 v0, vcc_lo, v0, v21
	v_add_co_ci_u32_e32 v1, vcc_lo, 0, v22, vcc_lo
	v_cmpx_ne_u32_e32 0, v15
	s_xor_b32 s0, exec_lo, s0
; %bb.55:
	s_delay_alu instid0(VALU_DEP_3) | instskip(SKIP_1) | instid1(VALU_DEP_2)
	v_and_b32_e32 v12, 0x1000000, v0
	v_bfe_u32 v14, v0, 24, 1
	v_cmp_eq_u64_e32 vcc_lo, 0, v[12:13]
	s_delay_alu instid0(VALU_DEP_2)
	v_lshrrev_b64 v[0:1], v14, v[0:1]
	v_cndmask_b32_e32 v14, v11, v15, vcc_lo
; %bb.56:
	s_and_not1_saveexec_b32 s0, s0
; %bb.57:
	s_delay_alu instid0(VALU_DEP_2)
	v_bfe_u32 v14, v0, 23, 1
; %bb.58:
	s_or_b32 exec_lo, exec_lo, s0
	s_delay_alu instid0(VALU_DEP_3) | instskip(NEXT) | instid1(VALU_DEP_2)
	v_lshrrev_b64 v[0:1], 20, v[0:1]
	v_cmp_gt_i32_e32 vcc_lo, 16, v14
	v_cmp_ne_u32_e64 s0, 0, v14
	s_delay_alu instid0(VALU_DEP_3) | instskip(NEXT) | instid1(VALU_DEP_1)
	v_dual_cndmask_b32 v12, 0, v1 :: v_dual_cndmask_b32 v11, 7, v0
                                        ; implicit-def: $vgpr0_vgpr1
	v_cmp_ne_u64_e32 vcc_lo, 0, v[11:12]
	s_delay_alu instid0(VALU_DEP_3) | instskip(NEXT) | instid1(SALU_CYCLE_1)
	s_or_b32 s0, s0, vcc_lo
	s_and_saveexec_b32 s1, s0
	s_delay_alu instid0(SALU_CYCLE_1)
	s_xor_b32 s0, exec_lo, s1
; %bb.59:
	v_min_i32_e32 v0, 15, v14
	s_delay_alu instid0(VALU_DEP_1) | instskip(NEXT) | instid1(VALU_DEP_1)
	v_lshl_or_b32 v0, v0, 3, v10
                                        ; implicit-def: $vgpr10
	v_and_or_b32 v0, v11, 7, v0
; %bb.60:
	s_and_not1_saveexec_b32 s0, s0
; %bb.61:
	v_dual_mov_b32 v0, v10 :: v_dual_mov_b32 v1, v11
; %bb.62:
	s_or_b32 exec_lo, exec_lo, s0
.LBB3_63:
	s_delay_alu instid0(SALU_CYCLE_1)
	s_or_b32 exec_lo, exec_lo, s12
.LBB3_64:
	s_and_not1_saveexec_b32 s0, s5
	s_delay_alu instid0(SALU_CYCLE_1)
	s_or_b32 exec_lo, exec_lo, s0
                                        ; implicit-def: $vgpr1
                                        ; implicit-def: $vgpr11_vgpr12
.LBB3_65:
	s_and_not1_saveexec_b32 s0, s4
; %bb.66:
	v_cmp_eq_u64_e32 vcc_lo, 0, v[11:12]
	v_or_b32_e32 v1, 0x7f, v1
	s_delay_alu instid0(VALU_DEP_1)
	v_cndmask_b32_e32 v0, v1, v0, vcc_lo
; %bb.67:
	s_or_b32 exec_lo, exec_lo, s0
	v_mov_b32_e32 v13, 0
	v_and_b32_e32 v1, 0xffff, v2
	s_mov_b32 s0, 0x43e00000
	s_delay_alu instid0(VALU_DEP_2) | instskip(SKIP_1) | instid1(VALU_DEP_2)
	v_mov_b32_e32 v16, v13
	;;#ASMSTART
	v_cvt_f32_f16 v1, v1;
	;;#ASMEND
	v_mul_f32_e32 v1, v17, v1
	s_delay_alu instid0(VALU_DEP_1) | instskip(SKIP_1) | instid1(VALU_DEP_1)
	v_minmax_f32 v14, v1, s0, 0xc3e00000
	s_mov_b32 s0, exec_lo
	v_and_b32_e32 v12, 0x7fffff, v14
	v_lshrrev_b32_e32 v11, 24, v14
	v_and_b32_e32 v15, 0x7f800000, v14
	s_delay_alu instid0(VALU_DEP_2) | instskip(NEXT) | instid1(VALU_DEP_1)
	v_and_b32_e32 v1, 0x80, v11
	v_or_b32_e32 v10, 0x7e, v1
	s_delay_alu instid0(VALU_DEP_3)
	v_cmpx_ne_u64_e32 0x7f800000, v[15:16]
	s_xor_b32 s4, exec_lo, s0
	s_cbranch_execz .LBB3_81
; %bb.68:
	v_dual_mov_b32 v16, v13 :: v_dual_and_b32 v15, 0x7fffffff, v14
	s_mov_b32 s0, exec_lo
	s_delay_alu instid0(VALU_DEP_1)
	v_cmpx_gt_u64_e32 0x43e00001, v[15:16]
	s_xor_b32 s5, exec_lo, s0
	s_cbranch_execz .LBB3_80
; %bb.69:
	s_mov_b32 s12, exec_lo
	v_mov_b32_e32 v10, 0
	v_mov_b32_e32 v11, 0
	v_cmpx_ne_u32_e32 0, v14
	s_cbranch_execz .LBB3_79
; %bb.70:
	v_bfe_u32 v23, v14, 23, 8
	v_mov_b32_e32 v14, 0
	s_delay_alu instid0(VALU_DEP_2) | instskip(SKIP_1) | instid1(VALU_DEP_2)
	v_sub_nc_u32_e64 v10, 0x79, v23 clamp
	v_cmp_eq_u32_e32 vcc_lo, 0, v23
	v_cndmask_b32_e64 v24, v10, 0x78, vcc_lo
	v_or_b32_e32 v10, 0x800000, v12
	s_delay_alu instid0(VALU_DEP_2) | instskip(NEXT) | instid1(VALU_DEP_2)
	v_add_nc_u32_e32 v11, 20, v24
	v_cndmask_b32_e32 v12, v10, v12, vcc_lo
	v_add_nc_u32_e32 v15, 19, v24
	s_delay_alu instid0(VALU_DEP_3) | instskip(NEXT) | instid1(VALU_DEP_3)
	v_lshlrev_b64 v[10:11], v11, -1
	v_lshrrev_b64 v[21:22], v24, v[12:13]
	s_delay_alu instid0(VALU_DEP_2) | instskip(NEXT) | instid1(VALU_DEP_2)
	v_not_b32_e32 v16, v11
	v_and_b32_e32 v13, 0x100000, v21
	s_delay_alu instid0(VALU_DEP_4) | instskip(SKIP_1) | instid1(VALU_DEP_4)
	v_not_b32_e32 v25, v10
	v_lshlrev_b64 v[10:11], v15, 1
	v_and_b32_e32 v16, 0, v16
	s_delay_alu instid0(VALU_DEP_4) | instskip(NEXT) | instid1(VALU_DEP_4)
	v_cmp_eq_u64_e64 s0, 0, v[13:14]
	v_and_b32_e32 v15, v12, v25
	v_add_nc_u32_e32 v12, 0xffffff88, v23
	s_delay_alu instid0(VALU_DEP_2) | instskip(NEXT) | instid1(VALU_DEP_2)
	v_cmp_eq_u64_e64 s1, v[15:16], v[10:11]
	v_cndmask_b32_e64 v10, v12, 0xffffff89, vcc_lo
	v_lshrrev_b32_e32 v11, 23, v21
                                        ; implicit-def: $vgpr15
	s_delay_alu instid0(VALU_DEP_3) | instskip(NEXT) | instid1(VALU_DEP_1)
	s_and_b32 vcc_lo, s0, s1
	v_add3_u32 v12, v10, v24, v11
	v_subrev_co_ci_u32_e32 v13, vcc_lo, 0, v21, vcc_lo
	s_mov_b32 s0, exec_lo
	s_delay_alu instid0(VALU_DEP_2) | instskip(NEXT) | instid1(VALU_DEP_2)
	v_add_nc_u32_e32 v16, -1, v12
	v_and_b32_e32 v10, 0xfffff, v13
	s_delay_alu instid0(VALU_DEP_1) | instskip(SKIP_1) | instid1(VALU_DEP_4)
	v_add_co_u32 v10, vcc_lo, v10, v21
	v_add_co_ci_u32_e32 v11, vcc_lo, 0, v22, vcc_lo
	v_cmpx_ne_u32_e32 0, v16
	s_xor_b32 s0, exec_lo, s0
; %bb.71:
	s_delay_alu instid0(VALU_DEP_3) | instskip(SKIP_1) | instid1(VALU_DEP_2)
	v_and_b32_e32 v13, 0x1000000, v10
	v_bfe_u32 v15, v10, 24, 1
	v_cmp_eq_u64_e32 vcc_lo, 0, v[13:14]
	s_delay_alu instid0(VALU_DEP_2)
	v_lshrrev_b64 v[10:11], v15, v[10:11]
	v_cndmask_b32_e32 v15, v12, v16, vcc_lo
; %bb.72:
	s_and_not1_saveexec_b32 s0, s0
; %bb.73:
	s_delay_alu instid0(VALU_DEP_2)
	v_bfe_u32 v15, v10, 23, 1
; %bb.74:
	s_or_b32 exec_lo, exec_lo, s0
	s_delay_alu instid0(VALU_DEP_3) | instskip(NEXT) | instid1(VALU_DEP_2)
	v_lshrrev_b64 v[10:11], 20, v[10:11]
	v_cmp_gt_i32_e32 vcc_lo, 16, v15
	v_cmp_ne_u32_e64 s0, 0, v15
	s_delay_alu instid0(VALU_DEP_3) | instskip(NEXT) | instid1(VALU_DEP_1)
	v_dual_cndmask_b32 v13, 0, v11 :: v_dual_cndmask_b32 v12, 7, v10
                                        ; implicit-def: $vgpr10_vgpr11
	v_cmp_ne_u64_e32 vcc_lo, 0, v[12:13]
	s_delay_alu instid0(VALU_DEP_3) | instskip(NEXT) | instid1(SALU_CYCLE_1)
	s_or_b32 s0, s0, vcc_lo
	s_and_saveexec_b32 s1, s0
	s_delay_alu instid0(SALU_CYCLE_1)
	s_xor_b32 s0, exec_lo, s1
; %bb.75:
	v_min_i32_e32 v10, 15, v15
	s_delay_alu instid0(VALU_DEP_1) | instskip(NEXT) | instid1(VALU_DEP_1)
	v_lshl_or_b32 v1, v10, 3, v1
	v_and_or_b32 v10, v12, 7, v1
                                        ; implicit-def: $vgpr1
; %bb.76:
	s_and_not1_saveexec_b32 s0, s0
; %bb.77:
	v_dual_mov_b32 v11, v2 :: v_dual_mov_b32 v10, v1
; %bb.78:
	s_or_b32 exec_lo, exec_lo, s0
.LBB3_79:
	s_delay_alu instid0(SALU_CYCLE_1)
	s_or_b32 exec_lo, exec_lo, s12
.LBB3_80:
	s_and_not1_saveexec_b32 s0, s5
	s_delay_alu instid0(SALU_CYCLE_1)
	s_or_b32 exec_lo, exec_lo, s0
                                        ; implicit-def: $vgpr11
                                        ; implicit-def: $vgpr12_vgpr13
.LBB3_81:
	s_and_not1_saveexec_b32 s0, s4
; %bb.82:
	v_cmp_eq_u64_e32 vcc_lo, 0, v[12:13]
	v_or_b32_e32 v1, 0x7f, v11
	s_delay_alu instid0(VALU_DEP_1)
	v_cndmask_b32_e32 v10, v1, v10, vcc_lo
; %bb.83:
	s_or_b32 exec_lo, exec_lo, s0
	v_lshrrev_b32_e32 v1, 16, v2
	;;#ASMSTART
	v_cvt_f32_f16 v1, v1;
	;;#ASMEND
	s_delay_alu instid0(VALU_DEP_1) | instskip(SKIP_2) | instid1(VALU_DEP_2)
	v_mul_f32_e32 v1, v17, v1
	s_mov_b32 s0, 0x43e00000
	v_mov_b32_e32 v13, 0
	v_minmax_f32 v14, v1, s0, 0xc3e00000
	s_mov_b32 s0, exec_lo
	s_delay_alu instid0(VALU_DEP_2) | instskip(NEXT) | instid1(VALU_DEP_2)
	v_mov_b32_e32 v16, v13
	v_and_b32_e32 v12, 0x7fffff, v14
	v_lshrrev_b32_e32 v2, 24, v14
	v_and_b32_e32 v15, 0x7f800000, v14
	s_delay_alu instid0(VALU_DEP_2) | instskip(NEXT) | instid1(VALU_DEP_1)
	v_and_b32_e32 v11, 0x80, v2
	v_or_b32_e32 v1, 0x7e, v11
	s_delay_alu instid0(VALU_DEP_3)
	v_cmpx_ne_u64_e32 0x7f800000, v[15:16]
	s_xor_b32 s4, exec_lo, s0
	s_cbranch_execz .LBB3_97
; %bb.84:
	v_dual_mov_b32 v16, v13 :: v_dual_and_b32 v15, 0x7fffffff, v14
	s_mov_b32 s0, exec_lo
	s_delay_alu instid0(VALU_DEP_1)
	v_cmpx_gt_u64_e32 0x43e00001, v[15:16]
	s_xor_b32 s5, exec_lo, s0
	s_cbranch_execz .LBB3_96
; %bb.85:
	s_mov_b32 s12, exec_lo
	v_mov_b32_e32 v1, 0
	v_mov_b32_e32 v2, 0
	v_cmpx_ne_u32_e32 0, v14
	s_cbranch_execz .LBB3_95
; %bb.86:
	v_bfe_u32 v23, v14, 23, 8
	v_mov_b32_e32 v14, 0
	s_delay_alu instid0(VALU_DEP_2) | instskip(SKIP_1) | instid1(VALU_DEP_2)
	v_sub_nc_u32_e64 v1, 0x79, v23 clamp
	v_cmp_eq_u32_e32 vcc_lo, 0, v23
	v_cndmask_b32_e64 v24, v1, 0x78, vcc_lo
	v_or_b32_e32 v1, 0x800000, v12
	s_delay_alu instid0(VALU_DEP_2) | instskip(NEXT) | instid1(VALU_DEP_2)
	v_add_nc_u32_e32 v2, 20, v24
	v_cndmask_b32_e32 v12, v1, v12, vcc_lo
	v_add_nc_u32_e32 v15, 19, v24
	s_delay_alu instid0(VALU_DEP_3) | instskip(NEXT) | instid1(VALU_DEP_3)
	v_lshlrev_b64 v[1:2], v2, -1
	v_lshrrev_b64 v[21:22], v24, v[12:13]
	s_delay_alu instid0(VALU_DEP_2) | instskip(NEXT) | instid1(VALU_DEP_3)
	v_not_b32_e32 v16, v2
	v_not_b32_e32 v25, v1
	v_lshlrev_b64 v[1:2], v15, 1
	s_delay_alu instid0(VALU_DEP_4) | instskip(NEXT) | instid1(VALU_DEP_4)
	v_and_b32_e32 v13, 0x100000, v21
	v_and_b32_e32 v16, 0, v16
	s_delay_alu instid0(VALU_DEP_4) | instskip(SKIP_1) | instid1(VALU_DEP_4)
	v_and_b32_e32 v15, v12, v25
	v_add_nc_u32_e32 v12, 0xffffff88, v23
	v_cmp_eq_u64_e64 s0, 0, v[13:14]
	s_delay_alu instid0(VALU_DEP_3) | instskip(NEXT) | instid1(VALU_DEP_3)
	v_cmp_eq_u64_e64 s1, v[15:16], v[1:2]
	v_cndmask_b32_e64 v1, v12, 0xffffff89, vcc_lo
	v_lshrrev_b32_e32 v2, 23, v21
                                        ; implicit-def: $vgpr15
	s_delay_alu instid0(VALU_DEP_3) | instskip(NEXT) | instid1(VALU_DEP_1)
	s_and_b32 vcc_lo, s0, s1
	v_add3_u32 v12, v1, v24, v2
	v_subrev_co_ci_u32_e32 v13, vcc_lo, 0, v21, vcc_lo
	s_mov_b32 s0, exec_lo
	s_delay_alu instid0(VALU_DEP_2) | instskip(NEXT) | instid1(VALU_DEP_2)
	v_add_nc_u32_e32 v16, -1, v12
	v_and_b32_e32 v1, 0xfffff, v13
	s_delay_alu instid0(VALU_DEP_1) | instskip(SKIP_1) | instid1(VALU_DEP_4)
	v_add_co_u32 v1, vcc_lo, v1, v21
	v_add_co_ci_u32_e32 v2, vcc_lo, 0, v22, vcc_lo
	v_cmpx_ne_u32_e32 0, v16
	s_xor_b32 s0, exec_lo, s0
; %bb.87:
	s_delay_alu instid0(VALU_DEP_3) | instskip(SKIP_1) | instid1(VALU_DEP_2)
	v_and_b32_e32 v13, 0x1000000, v1
	v_bfe_u32 v15, v1, 24, 1
	v_cmp_eq_u64_e32 vcc_lo, 0, v[13:14]
	s_delay_alu instid0(VALU_DEP_2)
	v_lshrrev_b64 v[1:2], v15, v[1:2]
	v_cndmask_b32_e32 v15, v12, v16, vcc_lo
; %bb.88:
	s_and_not1_saveexec_b32 s0, s0
; %bb.89:
	s_delay_alu instid0(VALU_DEP_2)
	v_bfe_u32 v15, v1, 23, 1
; %bb.90:
	s_or_b32 exec_lo, exec_lo, s0
	s_delay_alu instid0(VALU_DEP_3) | instskip(NEXT) | instid1(VALU_DEP_2)
	v_lshrrev_b64 v[1:2], 20, v[1:2]
	v_cmp_gt_i32_e32 vcc_lo, 16, v15
	v_cmp_ne_u32_e64 s0, 0, v15
	s_delay_alu instid0(VALU_DEP_3) | instskip(NEXT) | instid1(VALU_DEP_1)
	v_dual_cndmask_b32 v13, 0, v2 :: v_dual_cndmask_b32 v12, 7, v1
                                        ; implicit-def: $vgpr1_vgpr2
	v_cmp_ne_u64_e32 vcc_lo, 0, v[12:13]
	s_delay_alu instid0(VALU_DEP_3) | instskip(NEXT) | instid1(SALU_CYCLE_1)
	s_or_b32 s0, s0, vcc_lo
	s_and_saveexec_b32 s1, s0
	s_delay_alu instid0(SALU_CYCLE_1)
	s_xor_b32 s0, exec_lo, s1
; %bb.91:
	v_min_i32_e32 v1, 15, v15
	s_delay_alu instid0(VALU_DEP_1) | instskip(NEXT) | instid1(VALU_DEP_1)
	v_lshl_or_b32 v1, v1, 3, v11
                                        ; implicit-def: $vgpr11
	v_and_or_b32 v1, v12, 7, v1
; %bb.92:
	s_and_not1_saveexec_b32 s0, s0
; %bb.93:
	v_dual_mov_b32 v1, v11 :: v_dual_mov_b32 v2, v12
; %bb.94:
	s_or_b32 exec_lo, exec_lo, s0
.LBB3_95:
	s_delay_alu instid0(SALU_CYCLE_1)
	s_or_b32 exec_lo, exec_lo, s12
.LBB3_96:
	s_and_not1_saveexec_b32 s0, s5
	s_delay_alu instid0(SALU_CYCLE_1)
	s_or_b32 exec_lo, exec_lo, s0
                                        ; implicit-def: $vgpr2
                                        ; implicit-def: $vgpr12_vgpr13
.LBB3_97:
	s_and_not1_saveexec_b32 s0, s4
; %bb.98:
	v_cmp_eq_u64_e32 vcc_lo, 0, v[12:13]
	v_or_b32_e32 v2, 0x7f, v2
	s_delay_alu instid0(VALU_DEP_1)
	v_cndmask_b32_e32 v1, v2, v1, vcc_lo
; %bb.99:
	s_or_b32 exec_lo, exec_lo, s0
	v_and_b32_e32 v2, 0xffff, v3
	;;#ASMSTART
	v_cvt_f32_f16 v2, v2;
	;;#ASMEND
	s_delay_alu instid0(VALU_DEP_1)
	v_mul_f32_e32 v2, v17, v2
	s_mov_b32 s0, 0x43e00000
	s_delay_alu instid0(VALU_DEP_1) | instid1(SALU_CYCLE_1)
	v_minmax_f32 v15, v2, s0, 0xc3e00000
	v_mov_b32_e32 v14, 0
	s_mov_b32 s0, exec_lo
	s_delay_alu instid0(VALU_DEP_2) | instskip(SKIP_1) | instid1(VALU_DEP_3)
	v_and_b32_e32 v13, 0x7fffff, v15
	v_lshrrev_b32_e32 v12, 24, v15
	v_dual_mov_b32 v22, v14 :: v_dual_and_b32 v21, 0x7f800000, v15
	s_delay_alu instid0(VALU_DEP_2) | instskip(NEXT) | instid1(VALU_DEP_1)
	v_and_b32_e32 v2, 0x80, v12
	v_or_b32_e32 v11, 0x7e, v2
	s_delay_alu instid0(VALU_DEP_3)
	v_cmpx_ne_u64_e32 0x7f800000, v[21:22]
	s_xor_b32 s4, exec_lo, s0
	s_cbranch_execz .LBB3_113
; %bb.100:
	v_dual_mov_b32 v22, v14 :: v_dual_and_b32 v21, 0x7fffffff, v15
	s_mov_b32 s0, exec_lo
	s_delay_alu instid0(VALU_DEP_1)
	v_cmpx_gt_u64_e32 0x43e00001, v[21:22]
	s_xor_b32 s5, exec_lo, s0
	s_cbranch_execz .LBB3_112
; %bb.101:
	s_mov_b32 s12, exec_lo
	v_mov_b32_e32 v11, 0
	v_mov_b32_e32 v12, 0
	v_cmpx_ne_u32_e32 0, v15
	s_cbranch_execz .LBB3_111
; %bb.102:
	v_bfe_u32 v16, v15, 23, 8
	v_mov_b32_e32 v15, 0
	s_delay_alu instid0(VALU_DEP_2) | instskip(SKIP_1) | instid1(VALU_DEP_2)
	v_sub_nc_u32_e64 v11, 0x79, v16 clamp
	v_cmp_eq_u32_e32 vcc_lo, 0, v16
	v_cndmask_b32_e64 v21, v11, 0x78, vcc_lo
	v_or_b32_e32 v11, 0x800000, v13
	s_delay_alu instid0(VALU_DEP_2) | instskip(NEXT) | instid1(VALU_DEP_2)
	v_add_nc_u32_e32 v12, 20, v21
	v_cndmask_b32_e32 v13, v11, v13, vcc_lo
	v_add_nc_u32_e32 v24, 19, v21
	s_delay_alu instid0(VALU_DEP_3) | instskip(NEXT) | instid1(VALU_DEP_3)
	v_lshlrev_b64 v[11:12], v12, -1
	v_lshrrev_b64 v[22:23], v21, v[13:14]
	s_delay_alu instid0(VALU_DEP_2) | instskip(NEXT) | instid1(VALU_DEP_2)
	v_not_b32_e32 v25, v12
	v_and_b32_e32 v14, 0x100000, v22
	s_delay_alu instid0(VALU_DEP_4) | instskip(SKIP_1) | instid1(VALU_DEP_4)
	v_not_b32_e32 v26, v11
	v_lshlrev_b64 v[11:12], v24, 1
	v_and_b32_e32 v25, 0, v25
	s_delay_alu instid0(VALU_DEP_4) | instskip(NEXT) | instid1(VALU_DEP_4)
	v_cmp_eq_u64_e64 s0, 0, v[14:15]
	v_and_b32_e32 v24, v13, v26
	v_add_nc_u32_e32 v13, 0xffffff88, v16
                                        ; implicit-def: $vgpr16
	s_delay_alu instid0(VALU_DEP_2) | instskip(NEXT) | instid1(VALU_DEP_2)
	v_cmp_eq_u64_e64 s1, v[24:25], v[11:12]
	v_cndmask_b32_e64 v11, v13, 0xffffff89, vcc_lo
	v_lshrrev_b32_e32 v12, 23, v22
	s_delay_alu instid0(VALU_DEP_3) | instskip(NEXT) | instid1(VALU_DEP_1)
	s_and_b32 vcc_lo, s0, s1
	v_add3_u32 v13, v11, v21, v12
	v_subrev_co_ci_u32_e32 v14, vcc_lo, 0, v22, vcc_lo
	s_mov_b32 s0, exec_lo
	s_delay_alu instid0(VALU_DEP_2) | instskip(NEXT) | instid1(VALU_DEP_2)
	v_add_nc_u32_e32 v21, -1, v13
	v_and_b32_e32 v11, 0xfffff, v14
	s_delay_alu instid0(VALU_DEP_1) | instskip(SKIP_1) | instid1(VALU_DEP_4)
	v_add_co_u32 v11, vcc_lo, v11, v22
	v_add_co_ci_u32_e32 v12, vcc_lo, 0, v23, vcc_lo
	v_cmpx_ne_u32_e32 0, v21
	s_xor_b32 s0, exec_lo, s0
; %bb.103:
	s_delay_alu instid0(VALU_DEP_3) | instskip(SKIP_1) | instid1(VALU_DEP_2)
	v_and_b32_e32 v14, 0x1000000, v11
	v_bfe_u32 v16, v11, 24, 1
	v_cmp_eq_u64_e32 vcc_lo, 0, v[14:15]
	s_delay_alu instid0(VALU_DEP_2)
	v_lshrrev_b64 v[11:12], v16, v[11:12]
	v_cndmask_b32_e32 v16, v13, v21, vcc_lo
; %bb.104:
	s_and_not1_saveexec_b32 s0, s0
; %bb.105:
	s_delay_alu instid0(VALU_DEP_2)
	v_bfe_u32 v16, v11, 23, 1
; %bb.106:
	s_or_b32 exec_lo, exec_lo, s0
	s_delay_alu instid0(VALU_DEP_3) | instskip(NEXT) | instid1(VALU_DEP_2)
	v_lshrrev_b64 v[11:12], 20, v[11:12]
	v_cmp_gt_i32_e32 vcc_lo, 16, v16
	v_cmp_ne_u32_e64 s0, 0, v16
	s_delay_alu instid0(VALU_DEP_3) | instskip(NEXT) | instid1(VALU_DEP_1)
	v_dual_cndmask_b32 v14, 0, v12 :: v_dual_cndmask_b32 v13, 7, v11
                                        ; implicit-def: $vgpr11_vgpr12
	v_cmp_ne_u64_e32 vcc_lo, 0, v[13:14]
	s_delay_alu instid0(VALU_DEP_3) | instskip(NEXT) | instid1(SALU_CYCLE_1)
	s_or_b32 s0, s0, vcc_lo
	s_and_saveexec_b32 s1, s0
	s_delay_alu instid0(SALU_CYCLE_1)
	s_xor_b32 s0, exec_lo, s1
; %bb.107:
	v_min_i32_e32 v11, 15, v16
	s_delay_alu instid0(VALU_DEP_1) | instskip(NEXT) | instid1(VALU_DEP_1)
	v_lshl_or_b32 v2, v11, 3, v2
	v_and_or_b32 v11, v13, 7, v2
                                        ; implicit-def: $vgpr2
; %bb.108:
	s_and_not1_saveexec_b32 s0, s0
; %bb.109:
	v_dual_mov_b32 v12, v3 :: v_dual_mov_b32 v11, v2
; %bb.110:
	s_or_b32 exec_lo, exec_lo, s0
.LBB3_111:
	s_delay_alu instid0(SALU_CYCLE_1)
	s_or_b32 exec_lo, exec_lo, s12
.LBB3_112:
	s_and_not1_saveexec_b32 s0, s5
	s_delay_alu instid0(SALU_CYCLE_1)
	s_or_b32 exec_lo, exec_lo, s0
                                        ; implicit-def: $vgpr12
                                        ; implicit-def: $vgpr13_vgpr14
.LBB3_113:
	s_and_not1_saveexec_b32 s0, s4
; %bb.114:
	v_cmp_eq_u64_e32 vcc_lo, 0, v[13:14]
	v_or_b32_e32 v2, 0x7f, v12
	s_delay_alu instid0(VALU_DEP_1)
	v_cndmask_b32_e32 v11, v2, v11, vcc_lo
; %bb.115:
	s_or_b32 exec_lo, exec_lo, s0
	v_lshrrev_b32_e32 v2, 16, v3
	;;#ASMSTART
	v_cvt_f32_f16 v2, v2;
	;;#ASMEND
	s_delay_alu instid0(VALU_DEP_1)
	v_dual_mul_f32 v2, v17, v2 :: v_dual_mov_b32 v15, 0
	s_mov_b32 s0, 0x43e00000
	s_delay_alu instid0(VALU_DEP_1) | instid1(SALU_CYCLE_1)
	v_minmax_f32 v3, v2, s0, 0xc3e00000
	s_mov_b32 s0, exec_lo
	s_delay_alu instid0(VALU_DEP_2) | instskip(NEXT) | instid1(VALU_DEP_2)
	v_mov_b32_e32 v17, v15
	v_lshrrev_b32_e32 v13, 24, v3
	v_and_b32_e32 v16, 0x7f800000, v3
	v_and_b32_e32 v14, 0x7fffff, v3
	s_delay_alu instid0(VALU_DEP_3) | instskip(NEXT) | instid1(VALU_DEP_1)
	v_and_b32_e32 v2, 0x80, v13
	v_or_b32_e32 v12, 0x7e, v2
	s_delay_alu instid0(VALU_DEP_4)
	v_cmpx_ne_u64_e32 0x7f800000, v[16:17]
	s_xor_b32 s4, exec_lo, s0
	s_cbranch_execz .LBB3_129
; %bb.116:
	v_dual_mov_b32 v17, v15 :: v_dual_and_b32 v16, 0x7fffffff, v3
	s_mov_b32 s0, exec_lo
	s_delay_alu instid0(VALU_DEP_1)
	v_cmpx_gt_u64_e32 0x43e00001, v[16:17]
	s_xor_b32 s5, exec_lo, s0
	s_cbranch_execz .LBB3_128
; %bb.117:
	s_mov_b32 s12, exec_lo
	v_mov_b32_e32 v12, 0
	v_mov_b32_e32 v13, 0
	v_cmpx_ne_u32_e32 0, v3
	s_cbranch_execz .LBB3_127
; %bb.118:
	v_bfe_u32 v3, v3, 23, 8
	v_mov_b32_e32 v16, 0
	s_delay_alu instid0(VALU_DEP_2) | instskip(SKIP_2) | instid1(VALU_DEP_3)
	v_sub_nc_u32_e64 v12, 0x79, v3 clamp
	v_cmp_eq_u32_e32 vcc_lo, 0, v3
	v_add_nc_u32_e32 v3, 0xffffff88, v3
	v_cndmask_b32_e64 v17, v12, 0x78, vcc_lo
	v_or_b32_e32 v12, 0x800000, v14
	s_delay_alu instid0(VALU_DEP_3) | instskip(NEXT) | instid1(VALU_DEP_2)
	v_cndmask_b32_e64 v3, v3, 0xffffff89, vcc_lo
	v_dual_cndmask_b32 v14, v12, v14 :: v_dual_add_nc_u32 v13, 20, v17
	v_add_nc_u32_e32 v23, 19, v17
	s_delay_alu instid0(VALU_DEP_2) | instskip(NEXT) | instid1(VALU_DEP_3)
	v_lshlrev_b64 v[12:13], v13, -1
	v_lshrrev_b64 v[21:22], v17, v[14:15]
	s_delay_alu instid0(VALU_DEP_2) | instskip(NEXT) | instid1(VALU_DEP_3)
	v_not_b32_e32 v24, v13
	v_not_b32_e32 v25, v12
	v_lshlrev_b64 v[12:13], v23, 1
	s_delay_alu instid0(VALU_DEP_4) | instskip(NEXT) | instid1(VALU_DEP_4)
	v_and_b32_e32 v15, 0x100000, v21
	v_and_b32_e32 v24, 0, v24
	s_delay_alu instid0(VALU_DEP_4) | instskip(NEXT) | instid1(VALU_DEP_3)
	v_and_b32_e32 v23, v14, v25
	v_cmp_eq_u64_e64 s0, 0, v[15:16]
	s_delay_alu instid0(VALU_DEP_2) | instskip(SKIP_1) | instid1(VALU_DEP_1)
	v_cmp_eq_u64_e64 s1, v[23:24], v[12:13]
	v_lshrrev_b32_e32 v12, 23, v21
	v_add3_u32 v14, v3, v17, v12
	s_delay_alu instid0(VALU_DEP_3) | instskip(SKIP_2) | instid1(VALU_DEP_2)
	s_and_b32 vcc_lo, s0, s1
	s_mov_b32 s0, exec_lo
	v_subrev_co_ci_u32_e32 v13, vcc_lo, 0, v21, vcc_lo
	v_add_nc_u32_e32 v17, -1, v14
	s_delay_alu instid0(VALU_DEP_2) | instskip(NEXT) | instid1(VALU_DEP_1)
	v_and_b32_e32 v3, 0xfffff, v13
	v_add_co_u32 v12, vcc_lo, v3, v21
	v_add_co_ci_u32_e32 v13, vcc_lo, 0, v22, vcc_lo
                                        ; implicit-def: $vgpr3
	s_delay_alu instid0(VALU_DEP_4)
	v_cmpx_ne_u32_e32 0, v17
	s_xor_b32 s0, exec_lo, s0
; %bb.119:
	s_delay_alu instid0(VALU_DEP_3) | instskip(SKIP_1) | instid1(VALU_DEP_2)
	v_and_b32_e32 v15, 0x1000000, v12
	v_bfe_u32 v3, v12, 24, 1
	v_cmp_eq_u64_e32 vcc_lo, 0, v[15:16]
	s_delay_alu instid0(VALU_DEP_2)
	v_lshrrev_b64 v[12:13], v3, v[12:13]
	v_cndmask_b32_e32 v3, v14, v17, vcc_lo
; %bb.120:
	s_and_not1_saveexec_b32 s0, s0
; %bb.121:
	s_delay_alu instid0(VALU_DEP_2)
	v_bfe_u32 v3, v12, 23, 1
; %bb.122:
	s_or_b32 exec_lo, exec_lo, s0
	s_delay_alu instid0(VALU_DEP_3) | instskip(NEXT) | instid1(VALU_DEP_2)
	v_lshrrev_b64 v[12:13], 20, v[12:13]
	v_cmp_gt_i32_e32 vcc_lo, 16, v3
	v_cmp_ne_u32_e64 s0, 0, v3
	s_delay_alu instid0(VALU_DEP_3) | instskip(NEXT) | instid1(VALU_DEP_1)
	v_dual_cndmask_b32 v15, 0, v13 :: v_dual_cndmask_b32 v14, 7, v12
                                        ; implicit-def: $vgpr12_vgpr13
	v_cmp_ne_u64_e32 vcc_lo, 0, v[14:15]
	s_delay_alu instid0(VALU_DEP_3) | instskip(NEXT) | instid1(SALU_CYCLE_1)
	s_or_b32 s0, s0, vcc_lo
	s_and_saveexec_b32 s1, s0
	s_delay_alu instid0(SALU_CYCLE_1)
	s_xor_b32 s0, exec_lo, s1
; %bb.123:
	v_min_i32_e32 v3, 15, v3
	s_delay_alu instid0(VALU_DEP_1) | instskip(NEXT) | instid1(VALU_DEP_1)
	v_lshl_or_b32 v2, v3, 3, v2
	v_and_or_b32 v12, v14, 7, v2
                                        ; implicit-def: $vgpr2
; %bb.124:
	s_and_not1_saveexec_b32 s0, s0
; %bb.125:
	v_dual_mov_b32 v13, v3 :: v_dual_mov_b32 v12, v2
; %bb.126:
	s_or_b32 exec_lo, exec_lo, s0
.LBB3_127:
	s_delay_alu instid0(SALU_CYCLE_1)
	s_or_b32 exec_lo, exec_lo, s12
.LBB3_128:
	s_and_not1_saveexec_b32 s0, s5
	s_delay_alu instid0(SALU_CYCLE_1)
	s_or_b32 exec_lo, exec_lo, s0
                                        ; implicit-def: $vgpr13
                                        ; implicit-def: $vgpr14_vgpr15
.LBB3_129:
	s_and_not1_saveexec_b32 s0, s4
; %bb.130:
	v_cmp_eq_u64_e32 vcc_lo, 0, v[14:15]
	v_or_b32_e32 v2, 0x7f, v13
	s_delay_alu instid0(VALU_DEP_1)
	v_cndmask_b32_e32 v12, v2, v12, vcc_lo
; %bb.131:
	s_or_b32 exec_lo, exec_lo, s0
	v_lshlrev_b32_e32 v11, 16, v11
	v_lshlrev_b64 v[2:3], 3, v[4:5]
	v_lshlrev_b32_e32 v5, 16, v9
	v_lshlrev_b32_e32 v9, 24, v12
	;; [unrolled: 1-line block ×3, first 2 shown]
	v_and_b32_e32 v11, 0xff0000, v11
	v_lshlrev_b32_e32 v8, 8, v8
	v_perm_b32 v0, v0, v5, 0x4020c0c
	v_and_b32_e32 v5, 0xff, v10
	v_and_b32_e32 v10, 0xff00, v1
	v_or_b32_e32 v9, v9, v11
	v_and_b32_e32 v7, 0xff, v7
	v_and_or_b32 v8, 0xff00, v8, v0
	v_add_co_u32 v0, vcc_lo, v18, v2
	v_add_co_ci_u32_e32 v1, vcc_lo, v19, v3, vcc_lo
	v_or3_b32 v3, v9, v10, v5
	s_delay_alu instid0(VALU_DEP_4)
	v_or_b32_e32 v2, v8, v7
	global_store_b64 v[0:1], v[2:3], off
.LBB3_132:
	s_or_b32 exec_lo, exec_lo, s3
	v_cmp_eq_u32_e32 vcc_lo, 0, v4
	s_cmp_lg_u64 s[6:7], 0
	s_cselect_b32 s0, -1, 0
	s_delay_alu instid0(SALU_CYCLE_1) | instskip(NEXT) | instid1(SALU_CYCLE_1)
	s_and_b32 s1, s0, vcc_lo
	s_and_saveexec_b32 s0, s1
	s_cbranch_execz .LBB3_134
; %bb.133:
	v_mad_u64_u32 v[0:1], null, v20, s16, v[6:7]
	v_mov_b32_e32 v1, 0
	s_delay_alu instid0(VALU_DEP_1) | instskip(NEXT) | instid1(VALU_DEP_1)
	v_lshlrev_b64 v[0:1], 2, v[0:1]
	v_add_co_u32 v2, vcc_lo, s14, v0
	s_delay_alu instid0(VALU_DEP_2)
	v_add_co_ci_u32_e32 v3, vcc_lo, s15, v1, vcc_lo
	v_add_co_u32 v0, vcc_lo, s6, v0
	v_add_co_ci_u32_e32 v1, vcc_lo, s7, v1, vcc_lo
	global_load_b32 v2, v[2:3], off
	s_waitcnt vmcnt(0)
	global_store_b32 v[0:1], v2, off
.LBB3_134:
	s_or_b32 exec_lo, exec_lo, s0
                                        ; implicit-def: $vgpr4
                                        ; implicit-def: $vgpr6
                                        ; implicit-def: $vgpr20
                                        ; implicit-def: $vgpr5
                                        ; implicit-def: $vgpr0_vgpr1
                                        ; implicit-def: $vgpr17
                                        ; implicit-def: $vgpr2
                                        ; implicit-def: $vgpr3
                                        ; implicit-def: $vgpr18
                                        ; implicit-def: $vgpr19
.LBB3_135:
	s_and_not1_saveexec_b32 s0, s2
	s_cbranch_execz .LBB3_403
; %bb.136:
	v_mad_u64_u32 v[7:8], null, v20, s16, v[6:7]
	v_mov_b32_e32 v8, 0
	s_mov_b32 s1, exec_lo
	s_delay_alu instid0(VALU_DEP_1) | instskip(NEXT) | instid1(VALU_DEP_1)
	v_lshlrev_b64 v[6:7], 2, v[7:8]
	v_add_co_u32 v8, vcc_lo, s10, v6
	s_delay_alu instid0(VALU_DEP_2)
	v_add_co_ci_u32_e32 v9, vcc_lo, s11, v7, vcc_lo
	v_add_co_u32 v10, vcc_lo, s14, v6
	v_add_co_ci_u32_e32 v11, vcc_lo, s15, v7, vcc_lo
	global_load_b32 v8, v[8:9], off
	global_load_b32 v9, v[10:11], off
	s_waitcnt vmcnt(1)
	v_cmp_neq_f32_e64 vcc_lo, 0x7f800000, |v8|
	v_cndmask_b32_e32 v8, 0xff800000, v8, vcc_lo
	s_waitcnt vmcnt(0)
	v_cmp_neq_f32_e64 vcc_lo, 0x7f800000, |v9|
	v_cndmask_b32_e32 v9, 0xff800000, v9, vcc_lo
	v_add_co_u32 v0, vcc_lo, s8, v0
	v_add_co_ci_u32_e32 v1, vcc_lo, s9, v1, vcc_lo
	s_delay_alu instid0(VALU_DEP_3) | instskip(NEXT) | instid1(VALU_DEP_1)
	v_dual_max_f32 v11, v9, v9 :: v_dual_max_f32 v10, v8, v8
	v_max_f32_e32 v20, v10, v11
	s_delay_alu instid0(VALU_DEP_1)
	v_cmpx_neq_f32_e64 0x7f800000, |v20|
	s_xor_b32 s2, exec_lo, s1
	s_cbranch_execz .LBB3_270
; %bb.137:
	v_sub_f32_e32 v9, v9, v20
	v_sub_f32_e32 v8, v8, v20
	s_mov_b32 s3, exec_lo
	s_delay_alu instid0(VALU_DEP_2) | instskip(NEXT) | instid1(VALU_DEP_2)
	v_mul_f32_e32 v11, 0x3fb8aa3b, v9
	v_cmp_ngt_f32_e32 vcc_lo, 0xc2ce8ed0, v8
	s_delay_alu instid0(VALU_DEP_2) | instskip(SKIP_1) | instid1(VALU_DEP_1)
	v_rndne_f32_e32 v15, v11
	v_mul_f32_e32 v10, 0x3fb8aa3b, v8
	v_rndne_f32_e32 v13, v10
	v_fma_f32 v12, 0x3fb8aa3b, v8, -v10
	s_delay_alu instid0(VALU_DEP_2) | instskip(SKIP_1) | instid1(VALU_DEP_1)
	v_sub_f32_e32 v10, v10, v13
	v_fma_f32 v14, 0x3fb8aa3b, v9, -v11
	v_dual_sub_f32 v11, v11, v15 :: v_dual_fmac_f32 v14, 0x32a5705f, v9
	s_delay_alu instid0(VALU_DEP_1) | instskip(NEXT) | instid1(VALU_DEP_1)
	v_dual_fmac_f32 v12, 0x32a5705f, v8 :: v_dual_add_f32 v11, v11, v14
	v_add_f32_e32 v10, v10, v12
	v_cvt_i32_f32_e32 v12, v13
	v_cvt_i32_f32_e32 v13, v15
	s_delay_alu instid0(VALU_DEP_4) | instskip(NEXT) | instid1(VALU_DEP_3)
	v_exp_f32_e32 v11, v11
	v_exp_f32_e32 v10, v10
	s_waitcnt_depctr 0xfff
	v_ldexp_f32 v11, v11, v13
	v_ldexp_f32 v10, v10, v12
	s_delay_alu instid0(VALU_DEP_1) | instskip(SKIP_1) | instid1(VALU_DEP_4)
	v_cndmask_b32_e32 v10, 0, v10, vcc_lo
	v_cmp_ngt_f32_e32 vcc_lo, 0xc2ce8ed0, v9
	v_cndmask_b32_e32 v11, 0, v11, vcc_lo
	v_cmp_nlt_f32_e32 vcc_lo, 0x42b17218, v8
	s_delay_alu instid0(VALU_DEP_4) | instskip(SKIP_1) | instid1(VALU_DEP_4)
	v_cndmask_b32_e32 v8, 0x7f800000, v10, vcc_lo
	v_cmp_nlt_f32_e32 vcc_lo, 0x42b17218, v9
	v_cndmask_b32_e32 v9, 0x7f800000, v11, vcc_lo
	s_delay_alu instid0(VALU_DEP_1)
	v_add_f32_e32 v21, v8, v9
	v_cmpx_gt_u32_e64 s18, v5
	s_cbranch_execz .LBB3_267
; %bb.138:
	v_mov_b32_e32 v5, 0
	s_delay_alu instid0(VALU_DEP_1) | instskip(NEXT) | instid1(VALU_DEP_1)
	v_lshlrev_b64 v[10:11], 4, v[4:5]
	v_add_co_u32 v0, vcc_lo, v0, v10
	s_delay_alu instid0(VALU_DEP_2)
	v_add_co_ci_u32_e32 v1, vcc_lo, v1, v11, vcc_lo
	v_add_co_u32 v2, vcc_lo, v2, v10
	v_add_co_ci_u32_e32 v3, vcc_lo, v3, v11, vcc_lo
	v_div_scale_f32 v16, vcc_lo, v9, v21, v9
	global_load_b128 v[12:15], v[0:1], off
	global_load_b128 v[29:32], v[2:3], off
	v_div_scale_f32 v0, null, v21, v21, v9
	v_div_scale_f32 v1, null, v21, v21, v8
	s_delay_alu instid0(VALU_DEP_2) | instskip(NEXT) | instid1(VALU_DEP_1)
	v_rcp_f32_e32 v2, v0
	v_rcp_f32_e32 v3, v1
	s_waitcnt_depctr 0xfff
	v_fma_f32 v10, -v0, v2, 1.0
	v_fma_f32 v11, -v1, v3, 1.0
	s_delay_alu instid0(VALU_DEP_2) | instskip(SKIP_1) | instid1(VALU_DEP_3)
	v_fmac_f32_e32 v2, v10, v2
	v_div_scale_f32 v10, s0, v8, v21, v8
	v_fmac_f32_e32 v3, v11, v3
	s_delay_alu instid0(VALU_DEP_1) | instskip(NEXT) | instid1(VALU_DEP_1)
	v_dual_mul_f32 v11, v16, v2 :: v_dual_mul_f32 v22, v10, v3
	v_fma_f32 v23, -v0, v11, v16
	s_delay_alu instid0(VALU_DEP_2) | instskip(NEXT) | instid1(VALU_DEP_1)
	v_fma_f32 v24, -v1, v22, v10
	v_dual_fmac_f32 v11, v23, v2 :: v_dual_fmac_f32 v22, v24, v3
	s_delay_alu instid0(VALU_DEP_1) | instskip(NEXT) | instid1(VALU_DEP_2)
	v_fma_f32 v0, -v0, v11, v16
	v_fma_f32 v1, -v1, v22, v10
	s_delay_alu instid0(VALU_DEP_2) | instskip(SKIP_2) | instid1(VALU_DEP_2)
	v_div_fmas_f32 v0, v0, v2, v11
	s_mov_b32 vcc_lo, s0
	s_mov_b32 s0, 0x43e00000
	v_div_fmas_f32 v1, v1, v3, v22
	s_delay_alu instid0(VALU_DEP_2) | instskip(NEXT) | instid1(VALU_DEP_2)
	v_div_fixup_f32 v22, v0, v21, v9
	v_div_fixup_f32 v16, v1, v21, v8
	s_waitcnt vmcnt(1)
	v_and_b32_e32 v3, 0xffff, v12
	s_waitcnt vmcnt(0)
	v_and_b32_e32 v8, 0xffff, v29
	;;#ASMSTART
	v_cvt_f32_f16 v3, v3;
	;;#ASMEND
	;;#ASMSTART
	v_cvt_f32_f16 v8, v8;
	;;#ASMEND
	s_delay_alu instid0(VALU_DEP_1)
	v_mul_f32_e32 v8, v22, v8
	v_lshrrev_b32_e32 v0, 16, v12
	v_and_b32_e32 v10, 0xffff, v13
	v_lshrrev_b32_e32 v33, 16, v15
	v_lshrrev_b32_e32 v9, 16, v29
	v_fmac_f32_e32 v8, v16, v3
	;;#ASMSTART
	v_cvt_f32_f16 v3, v0;
	;;#ASMEND
	v_lshrrev_b32_e32 v23, 16, v30
	v_and_b32_e32 v12, 0xffff, v30
	;;#ASMSTART
	v_cvt_f32_f16 v30, v9;
	;;#ASMEND
	v_dual_mul_f32 v0, v17, v8 :: v_dual_and_b32 v15, 0xffff, v15
	;;#ASMSTART
	v_cvt_f32_f16 v11, v10;
	;;#ASMEND
	v_lshrrev_b32_e32 v1, 16, v13
	;;#ASMSTART
	v_cvt_f32_f16 v29, v12;
	;;#ASMEND
	s_delay_alu instid0(VALU_DEP_2)
	v_minmax_f32 v10, v0, s0, 0xc3e00000
	;;#ASMSTART
	v_cvt_f32_f16 v12, v1;
	;;#ASMEND
	v_lshrrev_b32_e32 v24, 16, v31
	v_lshrrev_b32_e32 v2, 16, v14
	v_and_b32_e32 v8, 0xffff, v14
	v_lshrrev_b32_e32 v1, 24, v10
	v_and_b32_e32 v9, 0xffff, v31
	;;#ASMSTART
	v_cvt_f32_f16 v28, v23;
	;;#ASMEND
	;;#ASMSTART
	v_cvt_f32_f16 v13, v8;
	;;#ASMEND
	;; [unrolled: 3-line block ×5, first 2 shown]
	v_dual_mov_b32 v24, v5 :: v_dual_and_b32 v23, 0x7f800000, v10
	v_and_b32_e32 v2, 0x80, v1
	v_dual_mov_b32 v9, v5 :: v_dual_and_b32 v8, 0x7fffff, v10
	v_and_b32_e32 v25, 0xffff, v32
	s_delay_alu instid0(VALU_DEP_4) | instskip(NEXT) | instid1(VALU_DEP_4)
	v_cmp_ne_u64_e32 vcc_lo, 0x7f800000, v[23:24]
	v_or_b32_e32 v0, 0x7e, v2
	v_lshrrev_b32_e32 v34, 16, v32
	;;#ASMSTART
	v_cvt_f32_f16 v15, v15;
	;;#ASMEND
	;;#ASMSTART
	v_cvt_f32_f16 v25, v25;
	;;#ASMEND
	;; [unrolled: 3-line block ×4, first 2 shown]
	s_and_saveexec_b32 s0, vcc_lo
	s_delay_alu instid0(SALU_CYCLE_1)
	s_xor_b32 s4, exec_lo, s0
	s_cbranch_execz .LBB3_152
; %bb.139:
	v_dual_mov_b32 v32, v5 :: v_dual_and_b32 v31, 0x7fffffff, v10
	s_mov_b32 s0, exec_lo
	s_delay_alu instid0(VALU_DEP_1)
	v_cmpx_gt_u64_e32 0x43e00001, v[31:32]
	s_xor_b32 s5, exec_lo, s0
	s_cbranch_execz .LBB3_151
; %bb.140:
	s_mov_b32 s8, exec_lo
	v_mov_b32_e32 v0, 0
	v_mov_b32_e32 v1, 0
	v_cmpx_ne_u32_e32 0, v10
	s_cbranch_execz .LBB3_150
; %bb.141:
	v_bfe_u32 v35, v10, 23, 8
	v_mov_b32_e32 v10, 0
	s_delay_alu instid0(VALU_DEP_2) | instskip(SKIP_1) | instid1(VALU_DEP_2)
	v_sub_nc_u32_e64 v0, 0x79, v35 clamp
	v_cmp_eq_u32_e32 vcc_lo, 0, v35
	v_cndmask_b32_e64 v36, v0, 0x78, vcc_lo
	v_or_b32_e32 v0, 0x800000, v8
	s_delay_alu instid0(VALU_DEP_2) | instskip(NEXT) | instid1(VALU_DEP_2)
	v_add_nc_u32_e32 v1, 20, v36
	v_cndmask_b32_e32 v8, v0, v8, vcc_lo
	v_add_nc_u32_e32 v31, 19, v36
	s_delay_alu instid0(VALU_DEP_3) | instskip(NEXT) | instid1(VALU_DEP_3)
	v_lshlrev_b64 v[0:1], v1, -1
	v_lshrrev_b64 v[33:34], v36, v[8:9]
	s_delay_alu instid0(VALU_DEP_2) | instskip(NEXT) | instid1(VALU_DEP_2)
	v_not_b32_e32 v32, v1
	v_and_b32_e32 v9, 0x100000, v33
	s_delay_alu instid0(VALU_DEP_4) | instskip(SKIP_1) | instid1(VALU_DEP_4)
	v_not_b32_e32 v37, v0
	v_lshlrev_b64 v[0:1], v31, 1
	v_and_b32_e32 v32, 0, v32
	s_delay_alu instid0(VALU_DEP_4) | instskip(NEXT) | instid1(VALU_DEP_4)
	v_cmp_eq_u64_e64 s0, 0, v[9:10]
	v_and_b32_e32 v31, v8, v37
	v_add_nc_u32_e32 v8, 0xffffff88, v35
	s_delay_alu instid0(VALU_DEP_2) | instskip(NEXT) | instid1(VALU_DEP_2)
	v_cmp_eq_u64_e64 s1, v[31:32], v[0:1]
	v_cndmask_b32_e64 v0, v8, 0xffffff89, vcc_lo
	v_lshrrev_b32_e32 v1, 23, v33
                                        ; implicit-def: $vgpr31
	s_delay_alu instid0(VALU_DEP_3) | instskip(NEXT) | instid1(VALU_DEP_1)
	s_and_b32 vcc_lo, s0, s1
	v_add3_u32 v8, v0, v36, v1
	v_subrev_co_ci_u32_e32 v9, vcc_lo, 0, v33, vcc_lo
	s_mov_b32 s0, exec_lo
	s_delay_alu instid0(VALU_DEP_2) | instskip(NEXT) | instid1(VALU_DEP_2)
	v_add_nc_u32_e32 v32, -1, v8
	v_and_b32_e32 v0, 0xfffff, v9
	s_delay_alu instid0(VALU_DEP_1) | instskip(SKIP_1) | instid1(VALU_DEP_4)
	v_add_co_u32 v0, vcc_lo, v0, v33
	v_add_co_ci_u32_e32 v1, vcc_lo, 0, v34, vcc_lo
	v_cmpx_ne_u32_e32 0, v32
	s_xor_b32 s0, exec_lo, s0
; %bb.142:
	s_delay_alu instid0(VALU_DEP_3) | instskip(SKIP_1) | instid1(VALU_DEP_2)
	v_and_b32_e32 v9, 0x1000000, v0
	v_bfe_u32 v31, v0, 24, 1
	v_cmp_eq_u64_e32 vcc_lo, 0, v[9:10]
	s_delay_alu instid0(VALU_DEP_2)
	v_lshrrev_b64 v[0:1], v31, v[0:1]
	v_cndmask_b32_e32 v31, v8, v32, vcc_lo
; %bb.143:
	s_and_not1_saveexec_b32 s0, s0
; %bb.144:
	s_delay_alu instid0(VALU_DEP_2)
	v_bfe_u32 v31, v0, 23, 1
; %bb.145:
	s_or_b32 exec_lo, exec_lo, s0
	s_delay_alu instid0(VALU_DEP_3) | instskip(NEXT) | instid1(VALU_DEP_2)
	v_lshrrev_b64 v[0:1], 20, v[0:1]
	v_cmp_gt_i32_e32 vcc_lo, 16, v31
	v_cmp_ne_u32_e64 s0, 0, v31
	s_delay_alu instid0(VALU_DEP_3) | instskip(NEXT) | instid1(VALU_DEP_1)
	v_dual_cndmask_b32 v9, 0, v1 :: v_dual_cndmask_b32 v8, 7, v0
                                        ; implicit-def: $vgpr0_vgpr1
	v_cmp_ne_u64_e32 vcc_lo, 0, v[8:9]
	s_delay_alu instid0(VALU_DEP_3) | instskip(NEXT) | instid1(SALU_CYCLE_1)
	s_or_b32 s0, s0, vcc_lo
	s_and_saveexec_b32 s1, s0
	s_delay_alu instid0(SALU_CYCLE_1)
	s_xor_b32 s0, exec_lo, s1
; %bb.146:
	v_min_i32_e32 v0, 15, v31
	s_delay_alu instid0(VALU_DEP_1) | instskip(NEXT) | instid1(VALU_DEP_1)
	v_lshl_or_b32 v0, v0, 3, v2
                                        ; implicit-def: $vgpr2
	v_and_or_b32 v0, v8, 7, v0
; %bb.147:
	s_and_not1_saveexec_b32 s0, s0
; %bb.148:
	v_dual_mov_b32 v0, v2 :: v_dual_mov_b32 v1, v3
; %bb.149:
	s_or_b32 exec_lo, exec_lo, s0
.LBB3_150:
	s_delay_alu instid0(SALU_CYCLE_1)
	s_or_b32 exec_lo, exec_lo, s8
.LBB3_151:
	s_and_not1_saveexec_b32 s0, s5
	s_delay_alu instid0(SALU_CYCLE_1)
	s_or_b32 exec_lo, exec_lo, s0
                                        ; implicit-def: $vgpr1
                                        ; implicit-def: $vgpr8_vgpr9
.LBB3_152:
	s_and_not1_saveexec_b32 s0, s4
; %bb.153:
	v_cmp_eq_u64_e32 vcc_lo, 0, v[8:9]
	v_or_b32_e32 v1, 0x7f, v1
	s_delay_alu instid0(VALU_DEP_1)
	v_cndmask_b32_e32 v0, v1, v0, vcc_lo
; %bb.154:
	s_or_b32 exec_lo, exec_lo, s0
	v_mul_f32_e32 v1, v22, v30
	s_mov_b32 s0, 0x43e00000
	v_mov_b32_e32 v9, 0
	s_delay_alu instid0(VALU_DEP_2) | instskip(NEXT) | instid1(VALU_DEP_2)
	v_fmac_f32_e32 v1, v16, v3
	v_mov_b32_e32 v31, v9
	s_delay_alu instid0(VALU_DEP_2) | instskip(NEXT) | instid1(VALU_DEP_1)
	v_mul_f32_e32 v1, v17, v1
	v_minmax_f32 v10, v1, s0, 0xc3e00000
	s_mov_b32 s0, exec_lo
	s_delay_alu instid0(VALU_DEP_1) | instskip(SKIP_2) | instid1(VALU_DEP_2)
	v_and_b32_e32 v8, 0x7fffff, v10
	v_lshrrev_b32_e32 v2, 24, v10
	v_and_b32_e32 v30, 0x7f800000, v10
	v_and_b32_e32 v3, 0x80, v2
	s_delay_alu instid0(VALU_DEP_1) | instskip(NEXT) | instid1(VALU_DEP_3)
	v_or_b32_e32 v1, 0x7e, v3
	v_cmpx_ne_u64_e32 0x7f800000, v[30:31]
	s_xor_b32 s4, exec_lo, s0
	s_cbranch_execz .LBB3_168
; %bb.155:
	v_dual_mov_b32 v31, v9 :: v_dual_and_b32 v30, 0x7fffffff, v10
	s_mov_b32 s0, exec_lo
	s_delay_alu instid0(VALU_DEP_1)
	v_cmpx_gt_u64_e32 0x43e00001, v[30:31]
	s_xor_b32 s5, exec_lo, s0
	s_cbranch_execz .LBB3_167
; %bb.156:
	s_mov_b32 s8, exec_lo
	v_mov_b32_e32 v1, 0
	v_mov_b32_e32 v2, 0
	v_cmpx_ne_u32_e32 0, v10
	s_cbranch_execz .LBB3_166
; %bb.157:
	v_bfe_u32 v34, v10, 23, 8
	s_delay_alu instid0(VALU_DEP_1) | instskip(SKIP_1) | instid1(VALU_DEP_2)
	v_sub_nc_u32_e64 v1, 0x79, v34 clamp
	v_cmp_eq_u32_e32 vcc_lo, 0, v34
	v_cndmask_b32_e64 v35, v1, 0x78, vcc_lo
	v_or_b32_e32 v1, 0x800000, v8
	s_delay_alu instid0(VALU_DEP_2) | instskip(NEXT) | instid1(VALU_DEP_2)
	v_add_nc_u32_e32 v2, 20, v35
	v_cndmask_b32_e32 v8, v1, v8, vcc_lo
	v_add_nc_u32_e32 v30, 19, v35
	s_delay_alu instid0(VALU_DEP_3) | instskip(NEXT) | instid1(VALU_DEP_1)
	v_lshlrev_b64 v[1:2], v2, -1
	v_not_b32_e32 v31, v2
	s_delay_alu instid0(VALU_DEP_2) | instskip(NEXT) | instid1(VALU_DEP_4)
	v_not_b32_e32 v36, v1
	v_lshlrev_b64 v[1:2], v30, 1
	s_delay_alu instid0(VALU_DEP_3) | instskip(SKIP_4) | instid1(VALU_DEP_4)
	v_and_b32_e32 v31, 0, v31
	v_lshrrev_b64 v[32:33], v35, v[8:9]
	v_mov_b32_e32 v10, 0
	v_and_b32_e32 v30, v8, v36
	v_add_nc_u32_e32 v8, 0xffffff88, v34
	v_and_b32_e32 v9, 0x100000, v32
	s_delay_alu instid0(VALU_DEP_3) | instskip(NEXT) | instid1(VALU_DEP_3)
	v_cmp_eq_u64_e64 s1, v[30:31], v[1:2]
	v_cndmask_b32_e64 v1, v8, 0xffffff89, vcc_lo
	v_lshrrev_b32_e32 v2, 23, v32
                                        ; implicit-def: $vgpr30
	s_delay_alu instid0(VALU_DEP_4) | instskip(NEXT) | instid1(VALU_DEP_2)
	v_cmp_eq_u64_e64 s0, 0, v[9:10]
	v_add3_u32 v8, v1, v35, v2
	s_delay_alu instid0(VALU_DEP_2) | instskip(SKIP_2) | instid1(VALU_DEP_2)
	s_and_b32 vcc_lo, s0, s1
	s_mov_b32 s0, exec_lo
	v_subrev_co_ci_u32_e32 v9, vcc_lo, 0, v32, vcc_lo
	v_add_nc_u32_e32 v31, -1, v8
	s_delay_alu instid0(VALU_DEP_2) | instskip(NEXT) | instid1(VALU_DEP_1)
	v_and_b32_e32 v1, 0xfffff, v9
	v_add_co_u32 v1, vcc_lo, v1, v32
	v_add_co_ci_u32_e32 v2, vcc_lo, 0, v33, vcc_lo
	s_delay_alu instid0(VALU_DEP_4)
	v_cmpx_ne_u32_e32 0, v31
	s_xor_b32 s0, exec_lo, s0
; %bb.158:
	s_delay_alu instid0(VALU_DEP_3) | instskip(SKIP_1) | instid1(VALU_DEP_2)
	v_and_b32_e32 v9, 0x1000000, v1
	v_bfe_u32 v30, v1, 24, 1
	v_cmp_eq_u64_e32 vcc_lo, 0, v[9:10]
	s_delay_alu instid0(VALU_DEP_2)
	v_lshrrev_b64 v[1:2], v30, v[1:2]
	v_cndmask_b32_e32 v30, v8, v31, vcc_lo
; %bb.159:
	s_and_not1_saveexec_b32 s0, s0
; %bb.160:
	s_delay_alu instid0(VALU_DEP_2)
	v_bfe_u32 v30, v1, 23, 1
; %bb.161:
	s_or_b32 exec_lo, exec_lo, s0
	s_delay_alu instid0(VALU_DEP_3) | instskip(NEXT) | instid1(VALU_DEP_2)
	v_lshrrev_b64 v[1:2], 20, v[1:2]
	v_cmp_gt_i32_e32 vcc_lo, 16, v30
	v_cmp_ne_u32_e64 s0, 0, v30
	s_delay_alu instid0(VALU_DEP_3) | instskip(NEXT) | instid1(VALU_DEP_1)
	v_dual_cndmask_b32 v9, 0, v2 :: v_dual_cndmask_b32 v8, 7, v1
                                        ; implicit-def: $vgpr1_vgpr2
	v_cmp_ne_u64_e32 vcc_lo, 0, v[8:9]
	s_delay_alu instid0(VALU_DEP_3) | instskip(NEXT) | instid1(SALU_CYCLE_1)
	s_or_b32 s0, s0, vcc_lo
	s_and_saveexec_b32 s1, s0
	s_delay_alu instid0(SALU_CYCLE_1)
	s_xor_b32 s0, exec_lo, s1
; %bb.162:
	v_min_i32_e32 v1, 15, v30
	s_delay_alu instid0(VALU_DEP_1) | instskip(NEXT) | instid1(VALU_DEP_1)
	v_lshl_or_b32 v1, v1, 3, v3
                                        ; implicit-def: $vgpr3
	v_and_or_b32 v1, v8, 7, v1
; %bb.163:
	s_and_not1_saveexec_b32 s0, s0
; %bb.164:
	v_dual_mov_b32 v1, v3 :: v_dual_mov_b32 v2, v4
; %bb.165:
	s_or_b32 exec_lo, exec_lo, s0
.LBB3_166:
	s_delay_alu instid0(SALU_CYCLE_1)
	s_or_b32 exec_lo, exec_lo, s8
.LBB3_167:
	s_and_not1_saveexec_b32 s0, s5
	s_delay_alu instid0(SALU_CYCLE_1)
	s_or_b32 exec_lo, exec_lo, s0
                                        ; implicit-def: $vgpr2
                                        ; implicit-def: $vgpr8_vgpr9
.LBB3_168:
	s_and_not1_saveexec_b32 s0, s4
; %bb.169:
	v_cmp_eq_u64_e32 vcc_lo, 0, v[8:9]
	v_or_b32_e32 v2, 0x7f, v2
	s_delay_alu instid0(VALU_DEP_1)
	v_cndmask_b32_e32 v1, v2, v1, vcc_lo
; %bb.170:
	s_or_b32 exec_lo, exec_lo, s0
	v_mul_f32_e32 v2, v22, v29
	s_mov_b32 s0, 0x43e00000
	v_mov_b32_e32 v10, 0
	s_delay_alu instid0(VALU_DEP_2) | instskip(NEXT) | instid1(VALU_DEP_2)
	v_fmac_f32_e32 v2, v16, v11
	v_mov_b32_e32 v30, v10
	s_delay_alu instid0(VALU_DEP_2) | instskip(NEXT) | instid1(VALU_DEP_1)
	v_mul_f32_e32 v2, v17, v2
	v_minmax_f32 v11, v2, s0, 0xc3e00000
	s_mov_b32 s0, exec_lo
	s_delay_alu instid0(VALU_DEP_1) | instskip(SKIP_2) | instid1(VALU_DEP_2)
	v_and_b32_e32 v9, 0x7fffff, v11
	v_lshrrev_b32_e32 v3, 24, v11
	v_and_b32_e32 v29, 0x7f800000, v11
	v_and_b32_e32 v8, 0x80, v3
	s_delay_alu instid0(VALU_DEP_1) | instskip(NEXT) | instid1(VALU_DEP_3)
	v_or_b32_e32 v2, 0x7e, v8
	v_cmpx_ne_u64_e32 0x7f800000, v[29:30]
	s_xor_b32 s4, exec_lo, s0
	s_cbranch_execz .LBB3_184
; %bb.171:
	v_dual_mov_b32 v30, v10 :: v_dual_and_b32 v29, 0x7fffffff, v11
	s_mov_b32 s0, exec_lo
	s_delay_alu instid0(VALU_DEP_1)
	v_cmpx_gt_u64_e32 0x43e00001, v[29:30]
	s_xor_b32 s5, exec_lo, s0
	s_cbranch_execz .LBB3_183
; %bb.172:
	s_mov_b32 s8, exec_lo
	v_mov_b32_e32 v2, 0
	v_mov_b32_e32 v3, 0
	v_cmpx_ne_u32_e32 0, v11
	s_cbranch_execz .LBB3_182
; %bb.173:
	v_bfe_u32 v33, v11, 23, 8
	s_delay_alu instid0(VALU_DEP_1) | instskip(SKIP_1) | instid1(VALU_DEP_2)
	v_sub_nc_u32_e64 v2, 0x79, v33 clamp
	v_cmp_eq_u32_e32 vcc_lo, 0, v33
	v_cndmask_b32_e64 v34, v2, 0x78, vcc_lo
	v_or_b32_e32 v2, 0x800000, v9
	s_delay_alu instid0(VALU_DEP_2) | instskip(NEXT) | instid1(VALU_DEP_2)
	v_add_nc_u32_e32 v3, 20, v34
	v_cndmask_b32_e32 v9, v2, v9, vcc_lo
	v_add_nc_u32_e32 v29, 19, v34
	s_delay_alu instid0(VALU_DEP_3) | instskip(NEXT) | instid1(VALU_DEP_3)
	v_lshlrev_b64 v[2:3], v3, -1
	v_lshrrev_b64 v[31:32], v34, v[9:10]
	s_delay_alu instid0(VALU_DEP_2) | instskip(NEXT) | instid1(VALU_DEP_2)
	v_not_b32_e32 v30, v3
	v_and_b32_e32 v10, 0x100000, v31
	s_delay_alu instid0(VALU_DEP_4) | instskip(SKIP_1) | instid1(VALU_DEP_4)
	v_not_b32_e32 v35, v2
	v_lshlrev_b64 v[2:3], v29, 1
	v_dual_mov_b32 v11, 0 :: v_dual_and_b32 v30, 0, v30
	s_delay_alu instid0(VALU_DEP_3) | instskip(SKIP_1) | instid1(VALU_DEP_3)
	v_and_b32_e32 v29, v9, v35
	v_add_nc_u32_e32 v9, 0xffffff88, v33
	v_cmp_eq_u64_e64 s0, 0, v[10:11]
	s_delay_alu instid0(VALU_DEP_3) | instskip(NEXT) | instid1(VALU_DEP_3)
	v_cmp_eq_u64_e64 s1, v[29:30], v[2:3]
	v_cndmask_b32_e64 v2, v9, 0xffffff89, vcc_lo
	v_lshrrev_b32_e32 v3, 23, v31
                                        ; implicit-def: $vgpr29
	s_delay_alu instid0(VALU_DEP_3) | instskip(NEXT) | instid1(VALU_DEP_1)
	s_and_b32 vcc_lo, s0, s1
	v_add3_u32 v9, v2, v34, v3
	v_subrev_co_ci_u32_e32 v10, vcc_lo, 0, v31, vcc_lo
	s_mov_b32 s0, exec_lo
	s_delay_alu instid0(VALU_DEP_2) | instskip(NEXT) | instid1(VALU_DEP_2)
	v_add_nc_u32_e32 v30, -1, v9
	v_and_b32_e32 v2, 0xfffff, v10
	s_delay_alu instid0(VALU_DEP_1) | instskip(SKIP_1) | instid1(VALU_DEP_4)
	v_add_co_u32 v2, vcc_lo, v2, v31
	v_add_co_ci_u32_e32 v3, vcc_lo, 0, v32, vcc_lo
	v_cmpx_ne_u32_e32 0, v30
	s_xor_b32 s0, exec_lo, s0
; %bb.174:
	s_delay_alu instid0(VALU_DEP_3) | instskip(SKIP_1) | instid1(VALU_DEP_2)
	v_and_b32_e32 v10, 0x1000000, v2
	v_bfe_u32 v29, v2, 24, 1
	v_cmp_eq_u64_e32 vcc_lo, 0, v[10:11]
	s_delay_alu instid0(VALU_DEP_2)
	v_lshrrev_b64 v[2:3], v29, v[2:3]
	v_cndmask_b32_e32 v29, v9, v30, vcc_lo
; %bb.175:
	s_and_not1_saveexec_b32 s0, s0
; %bb.176:
	s_delay_alu instid0(VALU_DEP_2)
	v_bfe_u32 v29, v2, 23, 1
; %bb.177:
	s_or_b32 exec_lo, exec_lo, s0
	s_delay_alu instid0(VALU_DEP_3) | instskip(NEXT) | instid1(VALU_DEP_2)
	v_lshrrev_b64 v[2:3], 20, v[2:3]
	v_cmp_gt_i32_e32 vcc_lo, 16, v29
	v_cmp_ne_u32_e64 s0, 0, v29
	s_delay_alu instid0(VALU_DEP_3) | instskip(NEXT) | instid1(VALU_DEP_1)
	v_dual_cndmask_b32 v10, 0, v3 :: v_dual_cndmask_b32 v9, 7, v2
                                        ; implicit-def: $vgpr2_vgpr3
	v_cmp_ne_u64_e32 vcc_lo, 0, v[9:10]
	s_delay_alu instid0(VALU_DEP_3) | instskip(NEXT) | instid1(SALU_CYCLE_1)
	s_or_b32 s0, s0, vcc_lo
	s_and_saveexec_b32 s1, s0
	s_delay_alu instid0(SALU_CYCLE_1)
	s_xor_b32 s0, exec_lo, s1
; %bb.178:
	v_min_i32_e32 v2, 15, v29
	s_delay_alu instid0(VALU_DEP_1) | instskip(NEXT) | instid1(VALU_DEP_1)
	v_lshl_or_b32 v2, v2, 3, v8
                                        ; implicit-def: $vgpr8
	v_and_or_b32 v2, v9, 7, v2
; %bb.179:
	s_and_not1_saveexec_b32 s0, s0
; %bb.180:
	v_dual_mov_b32 v2, v8 :: v_dual_mov_b32 v3, v9
; %bb.181:
	s_or_b32 exec_lo, exec_lo, s0
.LBB3_182:
	s_delay_alu instid0(SALU_CYCLE_1)
	s_or_b32 exec_lo, exec_lo, s8
.LBB3_183:
	s_and_not1_saveexec_b32 s0, s5
	s_delay_alu instid0(SALU_CYCLE_1)
	s_or_b32 exec_lo, exec_lo, s0
                                        ; implicit-def: $vgpr3
                                        ; implicit-def: $vgpr9_vgpr10
.LBB3_184:
	s_and_not1_saveexec_b32 s0, s4
; %bb.185:
	v_cmp_eq_u64_e32 vcc_lo, 0, v[9:10]
	v_or_b32_e32 v3, 0x7f, v3
	s_delay_alu instid0(VALU_DEP_1)
	v_cndmask_b32_e32 v2, v3, v2, vcc_lo
; %bb.186:
	s_or_b32 exec_lo, exec_lo, s0
	v_mul_f32_e32 v3, v22, v28
	s_mov_b32 s0, 0x43e00000
	s_delay_alu instid0(VALU_DEP_1) | instskip(NEXT) | instid1(VALU_DEP_1)
	v_fmac_f32_e32 v3, v16, v12
	v_mul_f32_e32 v3, v17, v3
	s_delay_alu instid0(VALU_DEP_1) | instskip(SKIP_2) | instid1(VALU_DEP_2)
	v_minmax_f32 v12, v3, s0, 0xc3e00000
	v_mov_b32_e32 v11, 0
	s_mov_b32 s0, exec_lo
	v_and_b32_e32 v10, 0x7fffff, v12
	v_lshrrev_b32_e32 v9, 24, v12
	s_delay_alu instid0(VALU_DEP_3) | instskip(NEXT) | instid1(VALU_DEP_2)
	v_dual_mov_b32 v29, v11 :: v_dual_and_b32 v28, 0x7f800000, v12
	v_and_b32_e32 v3, 0x80, v9
	s_delay_alu instid0(VALU_DEP_1) | instskip(NEXT) | instid1(VALU_DEP_3)
	v_or_b32_e32 v8, 0x7e, v3
	v_cmpx_ne_u64_e32 0x7f800000, v[28:29]
	s_xor_b32 s4, exec_lo, s0
	s_cbranch_execz .LBB3_200
; %bb.187:
	v_dual_mov_b32 v29, v11 :: v_dual_and_b32 v28, 0x7fffffff, v12
	s_mov_b32 s0, exec_lo
	s_delay_alu instid0(VALU_DEP_1)
	v_cmpx_gt_u64_e32 0x43e00001, v[28:29]
	s_xor_b32 s5, exec_lo, s0
	s_cbranch_execz .LBB3_199
; %bb.188:
	s_mov_b32 s8, exec_lo
	v_mov_b32_e32 v8, 0
	v_mov_b32_e32 v9, 0
	v_cmpx_ne_u32_e32 0, v12
	s_cbranch_execz .LBB3_198
; %bb.189:
	v_bfe_u32 v32, v12, 23, 8
	s_delay_alu instid0(VALU_DEP_1) | instskip(SKIP_1) | instid1(VALU_DEP_2)
	v_sub_nc_u32_e64 v8, 0x79, v32 clamp
	v_cmp_eq_u32_e32 vcc_lo, 0, v32
	v_cndmask_b32_e64 v33, v8, 0x78, vcc_lo
	v_or_b32_e32 v8, 0x800000, v10
	s_delay_alu instid0(VALU_DEP_1) | instskip(SKIP_1) | instid1(VALU_DEP_2)
	v_dual_cndmask_b32 v10, v8, v10 :: v_dual_add_nc_u32 v9, 20, v33
	v_add_nc_u32_e32 v28, 19, v33
	v_lshlrev_b64 v[8:9], v9, -1
	s_delay_alu instid0(VALU_DEP_3) | instskip(SKIP_1) | instid1(VALU_DEP_3)
	v_lshrrev_b64 v[30:31], v33, v[10:11]
	v_mov_b32_e32 v12, 0
	v_not_b32_e32 v29, v9
	s_delay_alu instid0(VALU_DEP_3) | instskip(SKIP_2) | instid1(VALU_DEP_4)
	v_and_b32_e32 v11, 0x100000, v30
	v_not_b32_e32 v34, v8
	v_lshlrev_b64 v[8:9], v28, 1
	v_and_b32_e32 v29, 0, v29
	s_delay_alu instid0(VALU_DEP_4) | instskip(NEXT) | instid1(VALU_DEP_4)
	v_cmp_eq_u64_e64 s0, 0, v[11:12]
	v_and_b32_e32 v28, v10, v34
	v_add_nc_u32_e32 v10, 0xffffff88, v32
	s_delay_alu instid0(VALU_DEP_2) | instskip(NEXT) | instid1(VALU_DEP_2)
	v_cmp_eq_u64_e64 s1, v[28:29], v[8:9]
	v_cndmask_b32_e64 v8, v10, 0xffffff89, vcc_lo
	v_lshrrev_b32_e32 v9, 23, v30
                                        ; implicit-def: $vgpr28
	s_delay_alu instid0(VALU_DEP_3) | instskip(NEXT) | instid1(VALU_DEP_1)
	s_and_b32 vcc_lo, s0, s1
	v_add3_u32 v10, v8, v33, v9
	v_subrev_co_ci_u32_e32 v11, vcc_lo, 0, v30, vcc_lo
	s_mov_b32 s0, exec_lo
	s_delay_alu instid0(VALU_DEP_2) | instskip(NEXT) | instid1(VALU_DEP_2)
	v_add_nc_u32_e32 v29, -1, v10
	v_and_b32_e32 v8, 0xfffff, v11
	s_delay_alu instid0(VALU_DEP_1) | instskip(SKIP_1) | instid1(VALU_DEP_4)
	v_add_co_u32 v8, vcc_lo, v8, v30
	v_add_co_ci_u32_e32 v9, vcc_lo, 0, v31, vcc_lo
	v_cmpx_ne_u32_e32 0, v29
	s_xor_b32 s0, exec_lo, s0
; %bb.190:
	s_delay_alu instid0(VALU_DEP_3) | instskip(SKIP_1) | instid1(VALU_DEP_2)
	v_and_b32_e32 v11, 0x1000000, v8
	v_bfe_u32 v28, v8, 24, 1
	v_cmp_eq_u64_e32 vcc_lo, 0, v[11:12]
	s_delay_alu instid0(VALU_DEP_2)
	v_lshrrev_b64 v[8:9], v28, v[8:9]
	v_cndmask_b32_e32 v28, v10, v29, vcc_lo
; %bb.191:
	s_and_not1_saveexec_b32 s0, s0
; %bb.192:
	s_delay_alu instid0(VALU_DEP_2)
	v_bfe_u32 v28, v8, 23, 1
; %bb.193:
	s_or_b32 exec_lo, exec_lo, s0
	s_delay_alu instid0(VALU_DEP_3) | instskip(NEXT) | instid1(VALU_DEP_2)
	v_lshrrev_b64 v[8:9], 20, v[8:9]
	v_cmp_gt_i32_e32 vcc_lo, 16, v28
	v_cmp_ne_u32_e64 s0, 0, v28
	s_delay_alu instid0(VALU_DEP_3) | instskip(NEXT) | instid1(VALU_DEP_1)
	v_dual_cndmask_b32 v11, 0, v9 :: v_dual_cndmask_b32 v10, 7, v8
                                        ; implicit-def: $vgpr8_vgpr9
	v_cmp_ne_u64_e32 vcc_lo, 0, v[10:11]
	s_delay_alu instid0(VALU_DEP_3) | instskip(NEXT) | instid1(SALU_CYCLE_1)
	s_or_b32 s0, s0, vcc_lo
	s_and_saveexec_b32 s1, s0
	s_delay_alu instid0(SALU_CYCLE_1)
	s_xor_b32 s0, exec_lo, s1
; %bb.194:
	v_min_i32_e32 v8, 15, v28
	s_delay_alu instid0(VALU_DEP_1) | instskip(NEXT) | instid1(VALU_DEP_1)
	v_lshl_or_b32 v3, v8, 3, v3
	v_and_or_b32 v8, v10, 7, v3
                                        ; implicit-def: $vgpr3
; %bb.195:
	s_and_not1_saveexec_b32 s0, s0
; %bb.196:
	v_dual_mov_b32 v9, v4 :: v_dual_mov_b32 v8, v3
; %bb.197:
	s_or_b32 exec_lo, exec_lo, s0
.LBB3_198:
	s_delay_alu instid0(SALU_CYCLE_1)
	s_or_b32 exec_lo, exec_lo, s8
.LBB3_199:
	s_and_not1_saveexec_b32 s0, s5
	s_delay_alu instid0(SALU_CYCLE_1)
	s_or_b32 exec_lo, exec_lo, s0
                                        ; implicit-def: $vgpr9
                                        ; implicit-def: $vgpr10_vgpr11
.LBB3_200:
	s_and_not1_saveexec_b32 s0, s4
; %bb.201:
	v_cmp_eq_u64_e32 vcc_lo, 0, v[10:11]
	v_or_b32_e32 v3, 0x7f, v9
	s_delay_alu instid0(VALU_DEP_1)
	v_cndmask_b32_e32 v8, v3, v8, vcc_lo
; %bb.202:
	s_or_b32 exec_lo, exec_lo, s0
	v_dual_mul_f32 v3, v22, v27 :: v_dual_mov_b32 v12, 0
	s_mov_b32 s0, 0x43e00000
	s_delay_alu instid0(VALU_DEP_1) | instskip(NEXT) | instid1(VALU_DEP_1)
	v_fmac_f32_e32 v3, v16, v13
	v_dual_mov_b32 v28, v12 :: v_dual_mul_f32 v3, v17, v3
	s_delay_alu instid0(VALU_DEP_1) | instskip(SKIP_1) | instid1(VALU_DEP_1)
	v_minmax_f32 v13, v3, s0, 0xc3e00000
	s_mov_b32 s0, exec_lo
	v_lshrrev_b32_e32 v10, 24, v13
	v_and_b32_e32 v27, 0x7f800000, v13
	v_and_b32_e32 v11, 0x7fffff, v13
	s_delay_alu instid0(VALU_DEP_3) | instskip(NEXT) | instid1(VALU_DEP_1)
	v_and_b32_e32 v3, 0x80, v10
	v_or_b32_e32 v9, 0x7e, v3
	s_delay_alu instid0(VALU_DEP_4)
	v_cmpx_ne_u64_e32 0x7f800000, v[27:28]
	s_xor_b32 s4, exec_lo, s0
	s_cbranch_execz .LBB3_216
; %bb.203:
	v_dual_mov_b32 v28, v12 :: v_dual_and_b32 v27, 0x7fffffff, v13
	s_mov_b32 s0, exec_lo
	s_delay_alu instid0(VALU_DEP_1)
	v_cmpx_gt_u64_e32 0x43e00001, v[27:28]
	s_xor_b32 s5, exec_lo, s0
	s_cbranch_execz .LBB3_215
; %bb.204:
	s_mov_b32 s8, exec_lo
	v_mov_b32_e32 v9, 0
	v_mov_b32_e32 v10, 0
	v_cmpx_ne_u32_e32 0, v13
	s_cbranch_execz .LBB3_214
; %bb.205:
	v_bfe_u32 v31, v13, 23, 8
	s_delay_alu instid0(VALU_DEP_1) | instskip(SKIP_1) | instid1(VALU_DEP_2)
	v_sub_nc_u32_e64 v9, 0x79, v31 clamp
	v_cmp_eq_u32_e32 vcc_lo, 0, v31
	v_cndmask_b32_e64 v32, v9, 0x78, vcc_lo
	v_or_b32_e32 v9, 0x800000, v11
	s_delay_alu instid0(VALU_DEP_1) | instskip(SKIP_1) | instid1(VALU_DEP_2)
	v_dual_cndmask_b32 v11, v9, v11 :: v_dual_add_nc_u32 v10, 20, v32
	v_add_nc_u32_e32 v27, 19, v32
	v_lshlrev_b64 v[9:10], v10, -1
	s_delay_alu instid0(VALU_DEP_3) | instskip(SKIP_1) | instid1(VALU_DEP_3)
	v_lshrrev_b64 v[29:30], v32, v[11:12]
	v_mov_b32_e32 v13, 0
	v_not_b32_e32 v28, v10
	s_delay_alu instid0(VALU_DEP_3) | instskip(SKIP_2) | instid1(VALU_DEP_4)
	v_and_b32_e32 v12, 0x100000, v29
	v_not_b32_e32 v33, v9
	v_lshlrev_b64 v[9:10], v27, 1
	v_and_b32_e32 v28, 0, v28
	s_delay_alu instid0(VALU_DEP_4) | instskip(NEXT) | instid1(VALU_DEP_4)
	v_cmp_eq_u64_e64 s0, 0, v[12:13]
	v_and_b32_e32 v27, v11, v33
	v_add_nc_u32_e32 v11, 0xffffff88, v31
	s_delay_alu instid0(VALU_DEP_2) | instskip(NEXT) | instid1(VALU_DEP_2)
	v_cmp_eq_u64_e64 s1, v[27:28], v[9:10]
	v_cndmask_b32_e64 v9, v11, 0xffffff89, vcc_lo
	v_lshrrev_b32_e32 v10, 23, v29
                                        ; implicit-def: $vgpr27
	s_delay_alu instid0(VALU_DEP_3) | instskip(NEXT) | instid1(VALU_DEP_1)
	s_and_b32 vcc_lo, s0, s1
	v_add3_u32 v11, v9, v32, v10
	v_subrev_co_ci_u32_e32 v12, vcc_lo, 0, v29, vcc_lo
	s_mov_b32 s0, exec_lo
	s_delay_alu instid0(VALU_DEP_2) | instskip(NEXT) | instid1(VALU_DEP_2)
	v_add_nc_u32_e32 v28, -1, v11
	v_and_b32_e32 v9, 0xfffff, v12
	s_delay_alu instid0(VALU_DEP_1) | instskip(SKIP_1) | instid1(VALU_DEP_4)
	v_add_co_u32 v9, vcc_lo, v9, v29
	v_add_co_ci_u32_e32 v10, vcc_lo, 0, v30, vcc_lo
	v_cmpx_ne_u32_e32 0, v28
	s_xor_b32 s0, exec_lo, s0
; %bb.206:
	s_delay_alu instid0(VALU_DEP_3) | instskip(SKIP_1) | instid1(VALU_DEP_2)
	v_and_b32_e32 v12, 0x1000000, v9
	v_bfe_u32 v27, v9, 24, 1
	v_cmp_eq_u64_e32 vcc_lo, 0, v[12:13]
	s_delay_alu instid0(VALU_DEP_2)
	v_lshrrev_b64 v[9:10], v27, v[9:10]
	v_cndmask_b32_e32 v27, v11, v28, vcc_lo
; %bb.207:
	s_and_not1_saveexec_b32 s0, s0
; %bb.208:
	s_delay_alu instid0(VALU_DEP_2)
	v_bfe_u32 v27, v9, 23, 1
; %bb.209:
	s_or_b32 exec_lo, exec_lo, s0
	s_delay_alu instid0(VALU_DEP_3) | instskip(NEXT) | instid1(VALU_DEP_2)
	v_lshrrev_b64 v[9:10], 20, v[9:10]
	v_cmp_gt_i32_e32 vcc_lo, 16, v27
	v_cmp_ne_u32_e64 s0, 0, v27
	s_delay_alu instid0(VALU_DEP_3) | instskip(NEXT) | instid1(VALU_DEP_1)
	v_dual_cndmask_b32 v12, 0, v10 :: v_dual_cndmask_b32 v11, 7, v9
                                        ; implicit-def: $vgpr9_vgpr10
	v_cmp_ne_u64_e32 vcc_lo, 0, v[11:12]
	s_delay_alu instid0(VALU_DEP_3) | instskip(NEXT) | instid1(SALU_CYCLE_1)
	s_or_b32 s0, s0, vcc_lo
	s_and_saveexec_b32 s1, s0
	s_delay_alu instid0(SALU_CYCLE_1)
	s_xor_b32 s0, exec_lo, s1
; %bb.210:
	v_min_i32_e32 v9, 15, v27
	s_delay_alu instid0(VALU_DEP_1) | instskip(NEXT) | instid1(VALU_DEP_1)
	v_lshl_or_b32 v3, v9, 3, v3
	v_and_or_b32 v9, v11, 7, v3
                                        ; implicit-def: $vgpr3
; %bb.211:
	s_and_not1_saveexec_b32 s0, s0
; %bb.212:
	v_dual_mov_b32 v10, v4 :: v_dual_mov_b32 v9, v3
; %bb.213:
	s_or_b32 exec_lo, exec_lo, s0
.LBB3_214:
	s_delay_alu instid0(SALU_CYCLE_1)
	s_or_b32 exec_lo, exec_lo, s8
.LBB3_215:
	s_and_not1_saveexec_b32 s0, s5
	s_delay_alu instid0(SALU_CYCLE_1)
	s_or_b32 exec_lo, exec_lo, s0
                                        ; implicit-def: $vgpr10
                                        ; implicit-def: $vgpr11_vgpr12
.LBB3_216:
	s_and_not1_saveexec_b32 s0, s4
; %bb.217:
	v_cmp_eq_u64_e32 vcc_lo, 0, v[11:12]
	v_or_b32_e32 v3, 0x7f, v10
	s_delay_alu instid0(VALU_DEP_1)
	v_cndmask_b32_e32 v9, v3, v9, vcc_lo
; %bb.218:
	s_or_b32 exec_lo, exec_lo, s0
	v_mul_f32_e32 v3, v22, v26
	s_mov_b32 s0, 0x43e00000
	s_delay_alu instid0(VALU_DEP_1) | instskip(NEXT) | instid1(VALU_DEP_1)
	v_fmac_f32_e32 v3, v16, v14
	v_mul_f32_e32 v3, v17, v3
	s_delay_alu instid0(VALU_DEP_1) | instskip(SKIP_2) | instid1(VALU_DEP_2)
	v_minmax_f32 v14, v3, s0, 0xc3e00000
	v_mov_b32_e32 v13, 0
	s_mov_b32 s0, exec_lo
	v_and_b32_e32 v12, 0x7fffff, v14
	v_lshrrev_b32_e32 v11, 24, v14
	s_delay_alu instid0(VALU_DEP_3) | instskip(NEXT) | instid1(VALU_DEP_2)
	v_dual_mov_b32 v27, v13 :: v_dual_and_b32 v26, 0x7f800000, v14
	v_and_b32_e32 v3, 0x80, v11
	s_delay_alu instid0(VALU_DEP_1) | instskip(NEXT) | instid1(VALU_DEP_3)
	v_or_b32_e32 v10, 0x7e, v3
	v_cmpx_ne_u64_e32 0x7f800000, v[26:27]
	s_xor_b32 s4, exec_lo, s0
	s_cbranch_execz .LBB3_232
; %bb.219:
	v_dual_mov_b32 v27, v13 :: v_dual_and_b32 v26, 0x7fffffff, v14
	s_mov_b32 s0, exec_lo
	s_delay_alu instid0(VALU_DEP_1)
	v_cmpx_gt_u64_e32 0x43e00001, v[26:27]
	s_xor_b32 s5, exec_lo, s0
	s_cbranch_execz .LBB3_231
; %bb.220:
	s_mov_b32 s8, exec_lo
	v_mov_b32_e32 v10, 0
	v_mov_b32_e32 v11, 0
	v_cmpx_ne_u32_e32 0, v14
	s_cbranch_execz .LBB3_230
; %bb.221:
	v_bfe_u32 v30, v14, 23, 8
	s_delay_alu instid0(VALU_DEP_1) | instskip(SKIP_1) | instid1(VALU_DEP_2)
	v_sub_nc_u32_e64 v10, 0x79, v30 clamp
	v_cmp_eq_u32_e32 vcc_lo, 0, v30
	v_cndmask_b32_e64 v31, v10, 0x78, vcc_lo
	v_or_b32_e32 v10, 0x800000, v12
	s_delay_alu instid0(VALU_DEP_1) | instskip(SKIP_1) | instid1(VALU_DEP_2)
	v_dual_cndmask_b32 v12, v10, v12 :: v_dual_add_nc_u32 v11, 20, v31
	v_add_nc_u32_e32 v26, 19, v31
	v_lshlrev_b64 v[10:11], v11, -1
	s_delay_alu instid0(VALU_DEP_3) | instskip(SKIP_1) | instid1(VALU_DEP_3)
	v_lshrrev_b64 v[28:29], v31, v[12:13]
	v_mov_b32_e32 v14, 0
	v_not_b32_e32 v27, v11
	s_delay_alu instid0(VALU_DEP_3) | instskip(SKIP_2) | instid1(VALU_DEP_4)
	v_and_b32_e32 v13, 0x100000, v28
	v_not_b32_e32 v32, v10
	v_lshlrev_b64 v[10:11], v26, 1
	v_and_b32_e32 v27, 0, v27
	s_delay_alu instid0(VALU_DEP_4) | instskip(NEXT) | instid1(VALU_DEP_4)
	v_cmp_eq_u64_e64 s0, 0, v[13:14]
	v_and_b32_e32 v26, v12, v32
	v_add_nc_u32_e32 v12, 0xffffff88, v30
	s_delay_alu instid0(VALU_DEP_2) | instskip(NEXT) | instid1(VALU_DEP_2)
	v_cmp_eq_u64_e64 s1, v[26:27], v[10:11]
	v_cndmask_b32_e64 v10, v12, 0xffffff89, vcc_lo
	v_lshrrev_b32_e32 v11, 23, v28
                                        ; implicit-def: $vgpr26
	s_delay_alu instid0(VALU_DEP_3) | instskip(NEXT) | instid1(VALU_DEP_1)
	s_and_b32 vcc_lo, s0, s1
	v_add3_u32 v12, v10, v31, v11
	v_subrev_co_ci_u32_e32 v13, vcc_lo, 0, v28, vcc_lo
	s_mov_b32 s0, exec_lo
	s_delay_alu instid0(VALU_DEP_2) | instskip(NEXT) | instid1(VALU_DEP_2)
	v_add_nc_u32_e32 v27, -1, v12
	v_and_b32_e32 v10, 0xfffff, v13
	s_delay_alu instid0(VALU_DEP_1) | instskip(SKIP_1) | instid1(VALU_DEP_4)
	v_add_co_u32 v10, vcc_lo, v10, v28
	v_add_co_ci_u32_e32 v11, vcc_lo, 0, v29, vcc_lo
	v_cmpx_ne_u32_e32 0, v27
	s_xor_b32 s0, exec_lo, s0
; %bb.222:
	s_delay_alu instid0(VALU_DEP_3) | instskip(SKIP_1) | instid1(VALU_DEP_2)
	v_and_b32_e32 v13, 0x1000000, v10
	v_bfe_u32 v26, v10, 24, 1
	v_cmp_eq_u64_e32 vcc_lo, 0, v[13:14]
	s_delay_alu instid0(VALU_DEP_2)
	v_lshrrev_b64 v[10:11], v26, v[10:11]
	v_cndmask_b32_e32 v26, v12, v27, vcc_lo
; %bb.223:
	s_and_not1_saveexec_b32 s0, s0
; %bb.224:
	s_delay_alu instid0(VALU_DEP_2)
	v_bfe_u32 v26, v10, 23, 1
; %bb.225:
	s_or_b32 exec_lo, exec_lo, s0
	s_delay_alu instid0(VALU_DEP_3) | instskip(NEXT) | instid1(VALU_DEP_2)
	v_lshrrev_b64 v[10:11], 20, v[10:11]
	v_cmp_gt_i32_e32 vcc_lo, 16, v26
	v_cmp_ne_u32_e64 s0, 0, v26
	s_delay_alu instid0(VALU_DEP_3) | instskip(NEXT) | instid1(VALU_DEP_1)
	v_dual_cndmask_b32 v13, 0, v11 :: v_dual_cndmask_b32 v12, 7, v10
                                        ; implicit-def: $vgpr10_vgpr11
	v_cmp_ne_u64_e32 vcc_lo, 0, v[12:13]
	s_delay_alu instid0(VALU_DEP_3) | instskip(NEXT) | instid1(SALU_CYCLE_1)
	s_or_b32 s0, s0, vcc_lo
	s_and_saveexec_b32 s1, s0
	s_delay_alu instid0(SALU_CYCLE_1)
	s_xor_b32 s0, exec_lo, s1
; %bb.226:
	v_min_i32_e32 v10, 15, v26
	s_delay_alu instid0(VALU_DEP_1) | instskip(NEXT) | instid1(VALU_DEP_1)
	v_lshl_or_b32 v3, v10, 3, v3
	v_and_or_b32 v10, v12, 7, v3
                                        ; implicit-def: $vgpr3
; %bb.227:
	s_and_not1_saveexec_b32 s0, s0
; %bb.228:
	v_dual_mov_b32 v11, v4 :: v_dual_mov_b32 v10, v3
; %bb.229:
	s_or_b32 exec_lo, exec_lo, s0
.LBB3_230:
	s_delay_alu instid0(SALU_CYCLE_1)
	s_or_b32 exec_lo, exec_lo, s8
.LBB3_231:
	s_and_not1_saveexec_b32 s0, s5
	s_delay_alu instid0(SALU_CYCLE_1)
	s_or_b32 exec_lo, exec_lo, s0
                                        ; implicit-def: $vgpr11
                                        ; implicit-def: $vgpr12_vgpr13
.LBB3_232:
	s_and_not1_saveexec_b32 s0, s4
; %bb.233:
	v_cmp_eq_u64_e32 vcc_lo, 0, v[12:13]
	v_or_b32_e32 v3, 0x7f, v11
	s_delay_alu instid0(VALU_DEP_1)
	v_cndmask_b32_e32 v10, v3, v10, vcc_lo
; %bb.234:
	s_or_b32 exec_lo, exec_lo, s0
	v_dual_mul_f32 v3, v22, v25 :: v_dual_mov_b32 v14, 0
	s_mov_b32 s0, 0x43e00000
	s_delay_alu instid0(VALU_DEP_1) | instskip(NEXT) | instid1(VALU_DEP_1)
	v_dual_fmac_f32 v3, v16, v15 :: v_dual_mov_b32 v26, v14
	v_mul_f32_e32 v3, v17, v3
	s_delay_alu instid0(VALU_DEP_1) | instskip(SKIP_1) | instid1(VALU_DEP_1)
	v_minmax_f32 v15, v3, s0, 0xc3e00000
	s_mov_b32 s0, exec_lo
	v_lshrrev_b32_e32 v12, 24, v15
	v_and_b32_e32 v25, 0x7f800000, v15
	v_and_b32_e32 v13, 0x7fffff, v15
	s_delay_alu instid0(VALU_DEP_3) | instskip(NEXT) | instid1(VALU_DEP_1)
	v_and_b32_e32 v3, 0x80, v12
	v_or_b32_e32 v11, 0x7e, v3
	s_delay_alu instid0(VALU_DEP_4)
	v_cmpx_ne_u64_e32 0x7f800000, v[25:26]
	s_xor_b32 s4, exec_lo, s0
	s_cbranch_execz .LBB3_248
; %bb.235:
	v_dual_mov_b32 v26, v14 :: v_dual_and_b32 v25, 0x7fffffff, v15
	s_mov_b32 s0, exec_lo
	s_delay_alu instid0(VALU_DEP_1)
	v_cmpx_gt_u64_e32 0x43e00001, v[25:26]
	s_xor_b32 s5, exec_lo, s0
	s_cbranch_execz .LBB3_247
; %bb.236:
	s_mov_b32 s8, exec_lo
	v_mov_b32_e32 v11, 0
	v_mov_b32_e32 v12, 0
	v_cmpx_ne_u32_e32 0, v15
	s_cbranch_execz .LBB3_246
; %bb.237:
	v_bfe_u32 v29, v15, 23, 8
	s_delay_alu instid0(VALU_DEP_1) | instskip(SKIP_1) | instid1(VALU_DEP_2)
	v_sub_nc_u32_e64 v11, 0x79, v29 clamp
	v_cmp_eq_u32_e32 vcc_lo, 0, v29
	v_cndmask_b32_e64 v30, v11, 0x78, vcc_lo
	v_or_b32_e32 v11, 0x800000, v13
	s_delay_alu instid0(VALU_DEP_1) | instskip(SKIP_1) | instid1(VALU_DEP_2)
	v_dual_cndmask_b32 v13, v11, v13 :: v_dual_add_nc_u32 v12, 20, v30
	v_add_nc_u32_e32 v25, 19, v30
	v_lshlrev_b64 v[11:12], v12, -1
	s_delay_alu instid0(VALU_DEP_3) | instskip(SKIP_1) | instid1(VALU_DEP_3)
	v_lshrrev_b64 v[27:28], v30, v[13:14]
	v_mov_b32_e32 v15, 0
	v_not_b32_e32 v26, v12
	s_delay_alu instid0(VALU_DEP_3) | instskip(SKIP_2) | instid1(VALU_DEP_4)
	v_and_b32_e32 v14, 0x100000, v27
	v_not_b32_e32 v31, v11
	v_lshlrev_b64 v[11:12], v25, 1
	v_and_b32_e32 v26, 0, v26
	s_delay_alu instid0(VALU_DEP_4) | instskip(NEXT) | instid1(VALU_DEP_4)
	v_cmp_eq_u64_e64 s0, 0, v[14:15]
	v_and_b32_e32 v25, v13, v31
	v_add_nc_u32_e32 v13, 0xffffff88, v29
	s_delay_alu instid0(VALU_DEP_2) | instskip(NEXT) | instid1(VALU_DEP_2)
	v_cmp_eq_u64_e64 s1, v[25:26], v[11:12]
	v_cndmask_b32_e64 v11, v13, 0xffffff89, vcc_lo
	v_lshrrev_b32_e32 v12, 23, v27
                                        ; implicit-def: $vgpr25
	s_delay_alu instid0(VALU_DEP_3) | instskip(NEXT) | instid1(VALU_DEP_1)
	s_and_b32 vcc_lo, s0, s1
	v_add3_u32 v13, v11, v30, v12
	v_subrev_co_ci_u32_e32 v14, vcc_lo, 0, v27, vcc_lo
	s_mov_b32 s0, exec_lo
	s_delay_alu instid0(VALU_DEP_2) | instskip(NEXT) | instid1(VALU_DEP_2)
	v_add_nc_u32_e32 v26, -1, v13
	v_and_b32_e32 v11, 0xfffff, v14
	s_delay_alu instid0(VALU_DEP_1) | instskip(SKIP_1) | instid1(VALU_DEP_4)
	v_add_co_u32 v11, vcc_lo, v11, v27
	v_add_co_ci_u32_e32 v12, vcc_lo, 0, v28, vcc_lo
	v_cmpx_ne_u32_e32 0, v26
	s_xor_b32 s0, exec_lo, s0
; %bb.238:
	s_delay_alu instid0(VALU_DEP_3) | instskip(SKIP_1) | instid1(VALU_DEP_2)
	v_and_b32_e32 v14, 0x1000000, v11
	v_bfe_u32 v25, v11, 24, 1
	v_cmp_eq_u64_e32 vcc_lo, 0, v[14:15]
	s_delay_alu instid0(VALU_DEP_2)
	v_lshrrev_b64 v[11:12], v25, v[11:12]
	v_cndmask_b32_e32 v25, v13, v26, vcc_lo
; %bb.239:
	s_and_not1_saveexec_b32 s0, s0
; %bb.240:
	s_delay_alu instid0(VALU_DEP_2)
	v_bfe_u32 v25, v11, 23, 1
; %bb.241:
	s_or_b32 exec_lo, exec_lo, s0
	s_delay_alu instid0(VALU_DEP_3) | instskip(NEXT) | instid1(VALU_DEP_2)
	v_lshrrev_b64 v[11:12], 20, v[11:12]
	v_cmp_gt_i32_e32 vcc_lo, 16, v25
	v_cmp_ne_u32_e64 s0, 0, v25
	s_delay_alu instid0(VALU_DEP_3) | instskip(NEXT) | instid1(VALU_DEP_1)
	v_dual_cndmask_b32 v14, 0, v12 :: v_dual_cndmask_b32 v13, 7, v11
                                        ; implicit-def: $vgpr11_vgpr12
	v_cmp_ne_u64_e32 vcc_lo, 0, v[13:14]
	s_delay_alu instid0(VALU_DEP_3) | instskip(NEXT) | instid1(SALU_CYCLE_1)
	s_or_b32 s0, s0, vcc_lo
	s_and_saveexec_b32 s1, s0
	s_delay_alu instid0(SALU_CYCLE_1)
	s_xor_b32 s0, exec_lo, s1
; %bb.242:
	v_min_i32_e32 v11, 15, v25
	s_delay_alu instid0(VALU_DEP_1) | instskip(NEXT) | instid1(VALU_DEP_1)
	v_lshl_or_b32 v3, v11, 3, v3
	v_and_or_b32 v11, v13, 7, v3
                                        ; implicit-def: $vgpr3
; %bb.243:
	s_and_not1_saveexec_b32 s0, s0
; %bb.244:
	v_dual_mov_b32 v12, v4 :: v_dual_mov_b32 v11, v3
; %bb.245:
	s_or_b32 exec_lo, exec_lo, s0
.LBB3_246:
	s_delay_alu instid0(SALU_CYCLE_1)
	s_or_b32 exec_lo, exec_lo, s8
.LBB3_247:
	s_and_not1_saveexec_b32 s0, s5
	s_delay_alu instid0(SALU_CYCLE_1)
	s_or_b32 exec_lo, exec_lo, s0
                                        ; implicit-def: $vgpr12
                                        ; implicit-def: $vgpr13_vgpr14
.LBB3_248:
	s_and_not1_saveexec_b32 s0, s4
; %bb.249:
	v_cmp_eq_u64_e32 vcc_lo, 0, v[13:14]
	v_or_b32_e32 v3, 0x7f, v12
	s_delay_alu instid0(VALU_DEP_1)
	v_cndmask_b32_e32 v11, v3, v11, vcc_lo
; %bb.250:
	s_or_b32 exec_lo, exec_lo, s0
	v_mul_f32_e32 v3, v22, v24
	s_mov_b32 s0, 0x43e00000
	v_mov_b32_e32 v15, 0
	s_delay_alu instid0(VALU_DEP_2) | instskip(NEXT) | instid1(VALU_DEP_2)
	v_fmac_f32_e32 v3, v16, v23
	v_mov_b32_e32 v23, v15
	s_delay_alu instid0(VALU_DEP_2) | instskip(NEXT) | instid1(VALU_DEP_1)
	v_mul_f32_e32 v3, v17, v3
	v_minmax_f32 v16, v3, s0, 0xc3e00000
	s_mov_b32 s0, exec_lo
	s_delay_alu instid0(VALU_DEP_1) | instskip(SKIP_2) | instid1(VALU_DEP_2)
	v_and_b32_e32 v14, 0x7fffff, v16
	v_lshrrev_b32_e32 v13, 24, v16
	v_and_b32_e32 v22, 0x7f800000, v16
	v_and_b32_e32 v3, 0x80, v13
	s_delay_alu instid0(VALU_DEP_1) | instskip(NEXT) | instid1(VALU_DEP_3)
	v_or_b32_e32 v12, 0x7e, v3
	v_cmpx_ne_u64_e32 0x7f800000, v[22:23]
	s_xor_b32 s4, exec_lo, s0
	s_cbranch_execz .LBB3_264
; %bb.251:
	v_dual_mov_b32 v23, v15 :: v_dual_and_b32 v22, 0x7fffffff, v16
	s_mov_b32 s0, exec_lo
	s_delay_alu instid0(VALU_DEP_1)
	v_cmpx_gt_u64_e32 0x43e00001, v[22:23]
	s_xor_b32 s5, exec_lo, s0
	s_cbranch_execz .LBB3_263
; %bb.252:
	s_mov_b32 s8, exec_lo
	v_mov_b32_e32 v12, 0
	v_mov_b32_e32 v13, 0
	v_cmpx_ne_u32_e32 0, v16
	s_cbranch_execz .LBB3_262
; %bb.253:
	v_bfe_u32 v17, v16, 23, 8
	v_mov_b32_e32 v16, 0
	s_delay_alu instid0(VALU_DEP_2) | instskip(SKIP_1) | instid1(VALU_DEP_2)
	v_sub_nc_u32_e64 v12, 0x79, v17 clamp
	v_cmp_eq_u32_e32 vcc_lo, 0, v17
	v_cndmask_b32_e64 v22, v12, 0x78, vcc_lo
	v_or_b32_e32 v12, 0x800000, v14
	s_delay_alu instid0(VALU_DEP_2) | instskip(NEXT) | instid1(VALU_DEP_2)
	v_add_nc_u32_e32 v13, 20, v22
	v_cndmask_b32_e32 v14, v12, v14, vcc_lo
	v_add_nc_u32_e32 v25, 19, v22
	s_delay_alu instid0(VALU_DEP_3) | instskip(NEXT) | instid1(VALU_DEP_3)
	v_lshlrev_b64 v[12:13], v13, -1
	v_lshrrev_b64 v[23:24], v22, v[14:15]
	s_delay_alu instid0(VALU_DEP_2) | instskip(NEXT) | instid1(VALU_DEP_2)
	v_not_b32_e32 v26, v13
	v_and_b32_e32 v15, 0x100000, v23
	s_delay_alu instid0(VALU_DEP_4) | instskip(SKIP_1) | instid1(VALU_DEP_4)
	v_not_b32_e32 v27, v12
	v_lshlrev_b64 v[12:13], v25, 1
	v_and_b32_e32 v26, 0, v26
	s_delay_alu instid0(VALU_DEP_4) | instskip(NEXT) | instid1(VALU_DEP_4)
	v_cmp_eq_u64_e64 s0, 0, v[15:16]
	v_and_b32_e32 v25, v14, v27
	v_add_nc_u32_e32 v14, 0xffffff88, v17
                                        ; implicit-def: $vgpr17
	s_delay_alu instid0(VALU_DEP_2) | instskip(NEXT) | instid1(VALU_DEP_2)
	v_cmp_eq_u64_e64 s1, v[25:26], v[12:13]
	v_cndmask_b32_e64 v12, v14, 0xffffff89, vcc_lo
	v_lshrrev_b32_e32 v13, 23, v23
	s_delay_alu instid0(VALU_DEP_3) | instskip(NEXT) | instid1(VALU_DEP_1)
	s_and_b32 vcc_lo, s0, s1
	v_add3_u32 v14, v12, v22, v13
	v_subrev_co_ci_u32_e32 v15, vcc_lo, 0, v23, vcc_lo
	s_mov_b32 s0, exec_lo
	s_delay_alu instid0(VALU_DEP_2) | instskip(NEXT) | instid1(VALU_DEP_2)
	v_add_nc_u32_e32 v22, -1, v14
	v_and_b32_e32 v12, 0xfffff, v15
	s_delay_alu instid0(VALU_DEP_1) | instskip(SKIP_1) | instid1(VALU_DEP_4)
	v_add_co_u32 v12, vcc_lo, v12, v23
	v_add_co_ci_u32_e32 v13, vcc_lo, 0, v24, vcc_lo
	v_cmpx_ne_u32_e32 0, v22
	s_xor_b32 s0, exec_lo, s0
; %bb.254:
	s_delay_alu instid0(VALU_DEP_3) | instskip(SKIP_1) | instid1(VALU_DEP_2)
	v_and_b32_e32 v15, 0x1000000, v12
	v_bfe_u32 v17, v12, 24, 1
	v_cmp_eq_u64_e32 vcc_lo, 0, v[15:16]
	s_delay_alu instid0(VALU_DEP_2)
	v_lshrrev_b64 v[12:13], v17, v[12:13]
	v_cndmask_b32_e32 v17, v14, v22, vcc_lo
; %bb.255:
	s_and_not1_saveexec_b32 s0, s0
; %bb.256:
	s_delay_alu instid0(VALU_DEP_2)
	v_bfe_u32 v17, v12, 23, 1
; %bb.257:
	s_or_b32 exec_lo, exec_lo, s0
	s_delay_alu instid0(VALU_DEP_3) | instskip(NEXT) | instid1(VALU_DEP_2)
	v_lshrrev_b64 v[12:13], 20, v[12:13]
	v_cmp_gt_i32_e32 vcc_lo, 16, v17
	v_cmp_ne_u32_e64 s0, 0, v17
	s_delay_alu instid0(VALU_DEP_3) | instskip(NEXT) | instid1(VALU_DEP_1)
	v_dual_cndmask_b32 v15, 0, v13 :: v_dual_cndmask_b32 v14, 7, v12
                                        ; implicit-def: $vgpr12_vgpr13
	v_cmp_ne_u64_e32 vcc_lo, 0, v[14:15]
	s_delay_alu instid0(VALU_DEP_3) | instskip(NEXT) | instid1(SALU_CYCLE_1)
	s_or_b32 s0, s0, vcc_lo
	s_and_saveexec_b32 s1, s0
	s_delay_alu instid0(SALU_CYCLE_1)
	s_xor_b32 s0, exec_lo, s1
; %bb.258:
	v_min_i32_e32 v12, 15, v17
	s_delay_alu instid0(VALU_DEP_1) | instskip(NEXT) | instid1(VALU_DEP_1)
	v_lshl_or_b32 v3, v12, 3, v3
	v_and_or_b32 v12, v14, 7, v3
                                        ; implicit-def: $vgpr3
; %bb.259:
	s_and_not1_saveexec_b32 s0, s0
; %bb.260:
	v_dual_mov_b32 v13, v4 :: v_dual_mov_b32 v12, v3
; %bb.261:
	s_or_b32 exec_lo, exec_lo, s0
.LBB3_262:
	s_delay_alu instid0(SALU_CYCLE_1)
	s_or_b32 exec_lo, exec_lo, s8
.LBB3_263:
	s_and_not1_saveexec_b32 s0, s5
	s_delay_alu instid0(SALU_CYCLE_1)
	s_or_b32 exec_lo, exec_lo, s0
                                        ; implicit-def: $vgpr13
                                        ; implicit-def: $vgpr14_vgpr15
.LBB3_264:
	s_and_not1_saveexec_b32 s0, s4
; %bb.265:
	v_cmp_eq_u64_e32 vcc_lo, 0, v[14:15]
	v_or_b32_e32 v3, 0x7f, v13
	s_delay_alu instid0(VALU_DEP_1)
	v_cndmask_b32_e32 v12, v3, v12, vcc_lo
; %bb.266:
	s_or_b32 exec_lo, exec_lo, s0
	v_lshlrev_b32_e32 v3, 16, v11
	v_lshlrev_b32_e32 v2, 16, v2
	v_lshlrev_b64 v[13:14], 3, v[4:5]
	v_lshlrev_b32_e32 v5, 24, v12
	v_lshlrev_b32_e32 v10, 8, v10
	v_and_b32_e32 v3, 0xff0000, v3
	v_lshlrev_b32_e32 v1, 8, v1
	v_perm_b32 v2, v8, v2, 0x4020c0c
	v_and_b32_e32 v8, 0xff, v9
	v_and_b32_e32 v9, 0xff00, v10
	v_or_b32_e32 v3, v5, v3
	v_and_b32_e32 v5, 0xff, v0
	v_and_or_b32 v2, 0xff00, v1, v2
	v_add_co_u32 v0, vcc_lo, v18, v13
	v_add_co_ci_u32_e32 v1, vcc_lo, v19, v14, vcc_lo
	v_or3_b32 v3, v3, v9, v8
	s_delay_alu instid0(VALU_DEP_4)
	v_or_b32_e32 v2, v2, v5
	global_store_b64 v[0:1], v[2:3], off
.LBB3_267:
	s_or_b32 exec_lo, exec_lo, s3
	v_cmp_eq_u32_e32 vcc_lo, 0, v4
	s_cmp_lg_u64 s[6:7], 0
	s_cselect_b32 s0, -1, 0
	s_delay_alu instid0(SALU_CYCLE_1) | instskip(NEXT) | instid1(SALU_CYCLE_1)
	s_and_b32 s0, s0, vcc_lo
	s_and_saveexec_b32 s1, s0
	s_cbranch_execz .LBB3_269
; %bb.268:
	v_cmp_gt_f32_e32 vcc_lo, 0x800000, v21
	v_cndmask_b32_e64 v0, 1.0, 0x4f800000, vcc_lo
	s_delay_alu instid0(VALU_DEP_1) | instskip(NEXT) | instid1(VALU_DEP_1)
	v_mul_f32_e32 v0, v21, v0
	v_log_f32_e32 v0, v0
	s_waitcnt_depctr 0xfff
	v_mul_f32_e32 v1, 0x3f317217, v0
	v_cmp_gt_f32_e64 s0, 0x7f800000, |v0|
	s_delay_alu instid0(VALU_DEP_2) | instskip(NEXT) | instid1(VALU_DEP_1)
	v_fma_f32 v2, 0x3f317217, v0, -v1
	v_fmamk_f32 v2, v0, 0x3377d1cf, v2
	s_delay_alu instid0(VALU_DEP_1) | instskip(NEXT) | instid1(VALU_DEP_1)
	v_add_f32_e32 v1, v1, v2
	v_cndmask_b32_e64 v0, v0, v1, s0
	v_cndmask_b32_e64 v1, 0, 0x41b17218, vcc_lo
	s_delay_alu instid0(VALU_DEP_1) | instskip(SKIP_2) | instid1(VALU_DEP_3)
	v_sub_f32_e32 v2, v0, v1
	v_add_co_u32 v0, vcc_lo, s6, v6
	v_add_co_ci_u32_e32 v1, vcc_lo, s7, v7, vcc_lo
	v_add_f32_e32 v2, v20, v2
	global_store_b32 v[0:1], v2, off
.LBB3_269:
	s_or_b32 exec_lo, exec_lo, s1
                                        ; implicit-def: $vgpr20
                                        ; implicit-def: $vgpr6_vgpr7
                                        ; implicit-def: $vgpr0
                                        ; implicit-def: $vgpr1
                                        ; implicit-def: $vgpr4
                                        ; implicit-def: $vgpr5
                                        ; implicit-def: $vgpr17
                                        ; implicit-def: $vgpr18
                                        ; implicit-def: $vgpr19
.LBB3_270:
	s_and_not1_saveexec_b32 s0, s2
	s_cbranch_execz .LBB3_403
; %bb.271:
	s_mov_b32 s2, exec_lo
	v_cmpx_gt_u32_e64 s18, v5
	s_cbranch_execz .LBB3_401
; %bb.272:
	v_mov_b32_e32 v5, 0
	s_mov_b32 s0, 0x43e00000
	s_delay_alu instid0(VALU_DEP_1) | instskip(NEXT) | instid1(VALU_DEP_1)
	v_lshlrev_b64 v[2:3], 4, v[4:5]
	v_add_co_u32 v0, vcc_lo, v0, v2
	s_delay_alu instid0(VALU_DEP_2) | instskip(SKIP_4) | instid1(VALU_DEP_1)
	v_add_co_ci_u32_e32 v1, vcc_lo, v1, v3, vcc_lo
	global_load_b128 v[0:3], v[0:1], off
	s_waitcnt vmcnt(0)
	v_and_b32_e32 v8, 0xffff, v0
	;;#ASMSTART
	v_cvt_f32_f16 v8, v8;
	;;#ASMEND
	v_mul_f32_e32 v8, v17, v8
	v_mov_b32_e32 v12, v5
	v_mov_b32_e32 v15, v5
	s_delay_alu instid0(VALU_DEP_3) | instskip(SKIP_1) | instid1(VALU_DEP_1)
	v_minmax_f32 v13, v8, s0, 0xc3e00000
	s_mov_b32 s0, exec_lo
	v_and_b32_e32 v11, 0x7fffff, v13
	v_lshrrev_b32_e32 v9, 24, v13
	v_and_b32_e32 v14, 0x7f800000, v13
	s_delay_alu instid0(VALU_DEP_2) | instskip(NEXT) | instid1(VALU_DEP_1)
	v_and_b32_e32 v10, 0x80, v9
	v_or_b32_e32 v8, 0x7e, v10
	s_delay_alu instid0(VALU_DEP_3)
	v_cmpx_ne_u64_e32 0x7f800000, v[14:15]
	s_xor_b32 s3, exec_lo, s0
	s_cbranch_execz .LBB3_286
; %bb.273:
	v_dual_mov_b32 v15, v5 :: v_dual_and_b32 v14, 0x7fffffff, v13
	s_mov_b32 s0, exec_lo
	s_delay_alu instid0(VALU_DEP_1)
	v_cmpx_gt_u64_e32 0x43e00001, v[14:15]
	s_xor_b32 s4, exec_lo, s0
	s_cbranch_execz .LBB3_285
; %bb.274:
	s_mov_b32 s5, exec_lo
	v_mov_b32_e32 v8, 0
	v_mov_b32_e32 v9, 0
	v_cmpx_ne_u32_e32 0, v13
	s_cbranch_execz .LBB3_284
; %bb.275:
	v_bfe_u32 v16, v13, 23, 8
	v_mov_b32_e32 v13, 0
	s_delay_alu instid0(VALU_DEP_2) | instskip(SKIP_1) | instid1(VALU_DEP_2)
	v_sub_nc_u32_e64 v8, 0x79, v16 clamp
	v_cmp_eq_u32_e32 vcc_lo, 0, v16
	v_cndmask_b32_e64 v23, v8, 0x78, vcc_lo
	v_or_b32_e32 v8, 0x800000, v11
	s_delay_alu instid0(VALU_DEP_2) | instskip(NEXT) | instid1(VALU_DEP_2)
	v_add_nc_u32_e32 v9, 20, v23
	v_cndmask_b32_e32 v11, v8, v11, vcc_lo
	v_add_nc_u32_e32 v14, 19, v23
	s_delay_alu instid0(VALU_DEP_3) | instskip(NEXT) | instid1(VALU_DEP_3)
	v_lshlrev_b64 v[8:9], v9, -1
	v_lshrrev_b64 v[21:22], v23, v[11:12]
	s_delay_alu instid0(VALU_DEP_2) | instskip(NEXT) | instid1(VALU_DEP_3)
	v_not_b32_e32 v15, v9
	v_not_b32_e32 v24, v8
	v_lshlrev_b64 v[8:9], v14, 1
	s_delay_alu instid0(VALU_DEP_4) | instskip(NEXT) | instid1(VALU_DEP_4)
	v_and_b32_e32 v12, 0x100000, v21
	v_and_b32_e32 v15, 0, v15
	s_delay_alu instid0(VALU_DEP_4) | instskip(SKIP_1) | instid1(VALU_DEP_4)
	v_and_b32_e32 v14, v11, v24
	v_add_nc_u32_e32 v11, 0xffffff88, v16
	v_cmp_eq_u64_e64 s0, 0, v[12:13]
	s_delay_alu instid0(VALU_DEP_3) | instskip(NEXT) | instid1(VALU_DEP_3)
	v_cmp_eq_u64_e64 s1, v[14:15], v[8:9]
	v_cndmask_b32_e64 v8, v11, 0xffffff89, vcc_lo
	v_lshrrev_b32_e32 v9, 23, v21
                                        ; implicit-def: $vgpr14
	s_delay_alu instid0(VALU_DEP_3) | instskip(NEXT) | instid1(VALU_DEP_1)
	s_and_b32 vcc_lo, s0, s1
	v_add3_u32 v11, v8, v23, v9
	v_subrev_co_ci_u32_e32 v12, vcc_lo, 0, v21, vcc_lo
	s_mov_b32 s0, exec_lo
	s_delay_alu instid0(VALU_DEP_2) | instskip(NEXT) | instid1(VALU_DEP_2)
	v_add_nc_u32_e32 v15, -1, v11
	v_and_b32_e32 v8, 0xfffff, v12
	s_delay_alu instid0(VALU_DEP_1) | instskip(SKIP_1) | instid1(VALU_DEP_4)
	v_add_co_u32 v8, vcc_lo, v8, v21
	v_add_co_ci_u32_e32 v9, vcc_lo, 0, v22, vcc_lo
	v_cmpx_ne_u32_e32 0, v15
	s_xor_b32 s0, exec_lo, s0
; %bb.276:
	s_delay_alu instid0(VALU_DEP_3) | instskip(SKIP_1) | instid1(VALU_DEP_2)
	v_and_b32_e32 v12, 0x1000000, v8
	v_bfe_u32 v14, v8, 24, 1
	v_cmp_eq_u64_e32 vcc_lo, 0, v[12:13]
	s_delay_alu instid0(VALU_DEP_2)
	v_lshrrev_b64 v[8:9], v14, v[8:9]
	v_cndmask_b32_e32 v14, v11, v15, vcc_lo
; %bb.277:
	s_and_not1_saveexec_b32 s0, s0
; %bb.278:
	s_delay_alu instid0(VALU_DEP_2)
	v_bfe_u32 v14, v8, 23, 1
; %bb.279:
	s_or_b32 exec_lo, exec_lo, s0
	s_delay_alu instid0(VALU_DEP_3) | instskip(NEXT) | instid1(VALU_DEP_2)
	v_lshrrev_b64 v[8:9], 20, v[8:9]
	v_cmp_gt_i32_e32 vcc_lo, 16, v14
	v_cmp_ne_u32_e64 s0, 0, v14
	s_delay_alu instid0(VALU_DEP_3) | instskip(NEXT) | instid1(VALU_DEP_1)
	v_dual_cndmask_b32 v12, 0, v9 :: v_dual_cndmask_b32 v11, 7, v8
                                        ; implicit-def: $vgpr8_vgpr9
	v_cmp_ne_u64_e32 vcc_lo, 0, v[11:12]
	s_delay_alu instid0(VALU_DEP_3) | instskip(NEXT) | instid1(SALU_CYCLE_1)
	s_or_b32 s0, s0, vcc_lo
	s_and_saveexec_b32 s1, s0
	s_delay_alu instid0(SALU_CYCLE_1)
	s_xor_b32 s0, exec_lo, s1
; %bb.280:
	v_min_i32_e32 v8, 15, v14
	s_delay_alu instid0(VALU_DEP_1) | instskip(NEXT) | instid1(VALU_DEP_1)
	v_lshl_or_b32 v8, v8, 3, v10
                                        ; implicit-def: $vgpr10
	v_and_or_b32 v8, v11, 7, v8
; %bb.281:
	s_and_not1_saveexec_b32 s0, s0
; %bb.282:
	v_dual_mov_b32 v8, v10 :: v_dual_mov_b32 v9, v11
; %bb.283:
	s_or_b32 exec_lo, exec_lo, s0
.LBB3_284:
	s_delay_alu instid0(SALU_CYCLE_1)
	s_or_b32 exec_lo, exec_lo, s5
.LBB3_285:
	s_and_not1_saveexec_b32 s0, s4
	s_delay_alu instid0(SALU_CYCLE_1)
	s_or_b32 exec_lo, exec_lo, s0
                                        ; implicit-def: $vgpr9
                                        ; implicit-def: $vgpr11_vgpr12
.LBB3_286:
	s_and_not1_saveexec_b32 s0, s3
; %bb.287:
	v_cmp_eq_u64_e32 vcc_lo, 0, v[11:12]
	v_or_b32_e32 v9, 0x7f, v9
	s_delay_alu instid0(VALU_DEP_1)
	v_cndmask_b32_e32 v8, v9, v8, vcc_lo
; %bb.288:
	s_or_b32 exec_lo, exec_lo, s0
	v_lshrrev_b32_e32 v0, 16, v0
	;;#ASMSTART
	v_cvt_f32_f16 v0, v0;
	;;#ASMEND
	v_mov_b32_e32 v12, 0
	s_delay_alu instid0(VALU_DEP_2) | instskip(SKIP_1) | instid1(VALU_DEP_2)
	v_mul_f32_e32 v0, v17, v0
	s_mov_b32 s0, 0x43e00000
	v_mov_b32_e32 v15, v12
	s_delay_alu instid0(VALU_DEP_2) | instskip(SKIP_1) | instid1(VALU_DEP_1)
	v_minmax_f32 v13, v0, s0, 0xc3e00000
	s_mov_b32 s0, exec_lo
	v_lshrrev_b32_e32 v10, 24, v13
	v_and_b32_e32 v14, 0x7f800000, v13
	v_and_b32_e32 v11, 0x7fffff, v13
	s_delay_alu instid0(VALU_DEP_3) | instskip(NEXT) | instid1(VALU_DEP_1)
	v_and_b32_e32 v0, 0x80, v10
	v_or_b32_e32 v9, 0x7e, v0
	s_delay_alu instid0(VALU_DEP_4)
	v_cmpx_ne_u64_e32 0x7f800000, v[14:15]
	s_xor_b32 s3, exec_lo, s0
	s_cbranch_execz .LBB3_302
; %bb.289:
	v_dual_mov_b32 v15, v12 :: v_dual_and_b32 v14, 0x7fffffff, v13
	s_mov_b32 s0, exec_lo
	s_delay_alu instid0(VALU_DEP_1)
	v_cmpx_gt_u64_e32 0x43e00001, v[14:15]
	s_xor_b32 s4, exec_lo, s0
	s_cbranch_execz .LBB3_301
; %bb.290:
	s_mov_b32 s5, exec_lo
	v_mov_b32_e32 v9, 0
	v_mov_b32_e32 v10, 0
	v_cmpx_ne_u32_e32 0, v13
	s_cbranch_execz .LBB3_300
; %bb.291:
	v_bfe_u32 v16, v13, 23, 8
	v_mov_b32_e32 v13, 0
	s_delay_alu instid0(VALU_DEP_2) | instskip(SKIP_1) | instid1(VALU_DEP_2)
	v_sub_nc_u32_e64 v9, 0x79, v16 clamp
	v_cmp_eq_u32_e32 vcc_lo, 0, v16
	v_cndmask_b32_e64 v23, v9, 0x78, vcc_lo
	v_or_b32_e32 v9, 0x800000, v11
	s_delay_alu instid0(VALU_DEP_2) | instskip(NEXT) | instid1(VALU_DEP_2)
	v_add_nc_u32_e32 v10, 20, v23
	v_cndmask_b32_e32 v11, v9, v11, vcc_lo
	v_add_nc_u32_e32 v14, 19, v23
	s_delay_alu instid0(VALU_DEP_3) | instskip(NEXT) | instid1(VALU_DEP_3)
	v_lshlrev_b64 v[9:10], v10, -1
	v_lshrrev_b64 v[21:22], v23, v[11:12]
	s_delay_alu instid0(VALU_DEP_2) | instskip(NEXT) | instid1(VALU_DEP_2)
	v_not_b32_e32 v15, v10
	v_and_b32_e32 v12, 0x100000, v21
	s_delay_alu instid0(VALU_DEP_4) | instskip(SKIP_1) | instid1(VALU_DEP_4)
	v_not_b32_e32 v24, v9
	v_lshlrev_b64 v[9:10], v14, 1
	v_and_b32_e32 v15, 0, v15
	s_delay_alu instid0(VALU_DEP_4) | instskip(NEXT) | instid1(VALU_DEP_4)
	v_cmp_eq_u64_e64 s0, 0, v[12:13]
	v_and_b32_e32 v14, v11, v24
	v_add_nc_u32_e32 v11, 0xffffff88, v16
	s_delay_alu instid0(VALU_DEP_2) | instskip(NEXT) | instid1(VALU_DEP_2)
	v_cmp_eq_u64_e64 s1, v[14:15], v[9:10]
	v_cndmask_b32_e64 v9, v11, 0xffffff89, vcc_lo
	v_lshrrev_b32_e32 v10, 23, v21
                                        ; implicit-def: $vgpr14
	s_delay_alu instid0(VALU_DEP_3) | instskip(NEXT) | instid1(VALU_DEP_1)
	s_and_b32 vcc_lo, s0, s1
	v_add3_u32 v11, v9, v23, v10
	v_subrev_co_ci_u32_e32 v12, vcc_lo, 0, v21, vcc_lo
	s_mov_b32 s0, exec_lo
	s_delay_alu instid0(VALU_DEP_2) | instskip(NEXT) | instid1(VALU_DEP_2)
	v_add_nc_u32_e32 v15, -1, v11
	v_and_b32_e32 v9, 0xfffff, v12
	s_delay_alu instid0(VALU_DEP_1) | instskip(SKIP_1) | instid1(VALU_DEP_4)
	v_add_co_u32 v9, vcc_lo, v9, v21
	v_add_co_ci_u32_e32 v10, vcc_lo, 0, v22, vcc_lo
	v_cmpx_ne_u32_e32 0, v15
	s_xor_b32 s0, exec_lo, s0
; %bb.292:
	s_delay_alu instid0(VALU_DEP_3) | instskip(SKIP_1) | instid1(VALU_DEP_2)
	v_and_b32_e32 v12, 0x1000000, v9
	v_bfe_u32 v14, v9, 24, 1
	v_cmp_eq_u64_e32 vcc_lo, 0, v[12:13]
	s_delay_alu instid0(VALU_DEP_2)
	v_lshrrev_b64 v[9:10], v14, v[9:10]
	v_cndmask_b32_e32 v14, v11, v15, vcc_lo
; %bb.293:
	s_and_not1_saveexec_b32 s0, s0
; %bb.294:
	s_delay_alu instid0(VALU_DEP_2)
	v_bfe_u32 v14, v9, 23, 1
; %bb.295:
	s_or_b32 exec_lo, exec_lo, s0
	s_delay_alu instid0(VALU_DEP_3) | instskip(NEXT) | instid1(VALU_DEP_2)
	v_lshrrev_b64 v[9:10], 20, v[9:10]
	v_cmp_gt_i32_e32 vcc_lo, 16, v14
	v_cmp_ne_u32_e64 s0, 0, v14
	s_delay_alu instid0(VALU_DEP_3) | instskip(NEXT) | instid1(VALU_DEP_1)
	v_dual_cndmask_b32 v12, 0, v10 :: v_dual_cndmask_b32 v11, 7, v9
                                        ; implicit-def: $vgpr9_vgpr10
	v_cmp_ne_u64_e32 vcc_lo, 0, v[11:12]
	s_delay_alu instid0(VALU_DEP_3) | instskip(NEXT) | instid1(SALU_CYCLE_1)
	s_or_b32 s0, s0, vcc_lo
	s_and_saveexec_b32 s1, s0
	s_delay_alu instid0(SALU_CYCLE_1)
	s_xor_b32 s0, exec_lo, s1
; %bb.296:
	v_min_i32_e32 v9, 15, v14
	s_delay_alu instid0(VALU_DEP_1) | instskip(NEXT) | instid1(VALU_DEP_1)
	v_lshl_or_b32 v0, v9, 3, v0
	v_and_or_b32 v9, v11, 7, v0
                                        ; implicit-def: $vgpr0
; %bb.297:
	s_and_not1_saveexec_b32 s0, s0
; %bb.298:
	v_dual_mov_b32 v10, v1 :: v_dual_mov_b32 v9, v0
; %bb.299:
	s_or_b32 exec_lo, exec_lo, s0
.LBB3_300:
	s_delay_alu instid0(SALU_CYCLE_1)
	s_or_b32 exec_lo, exec_lo, s5
.LBB3_301:
	s_and_not1_saveexec_b32 s0, s4
	s_delay_alu instid0(SALU_CYCLE_1)
	s_or_b32 exec_lo, exec_lo, s0
                                        ; implicit-def: $vgpr10
                                        ; implicit-def: $vgpr11_vgpr12
.LBB3_302:
	s_and_not1_saveexec_b32 s0, s3
; %bb.303:
	v_cmp_eq_u64_e32 vcc_lo, 0, v[11:12]
	v_or_b32_e32 v0, 0x7f, v10
	s_delay_alu instid0(VALU_DEP_1)
	v_cndmask_b32_e32 v9, v0, v9, vcc_lo
; %bb.304:
	s_or_b32 exec_lo, exec_lo, s0
	v_dual_mov_b32 v13, 0 :: v_dual_and_b32 v0, 0xffff, v1
	;;#ASMSTART
	v_cvt_f32_f16 v0, v0;
	;;#ASMEND
	s_delay_alu instid0(VALU_DEP_1) | instskip(SKIP_1) | instid1(VALU_DEP_2)
	v_mul_f32_e32 v0, v17, v0
	s_mov_b32 s0, 0x43e00000
	v_mov_b32_e32 v16, v13
	s_delay_alu instid0(VALU_DEP_2) | instskip(SKIP_1) | instid1(VALU_DEP_1)
	v_minmax_f32 v14, v0, s0, 0xc3e00000
	s_mov_b32 s0, exec_lo
	v_and_b32_e32 v15, 0x7f800000, v14
	v_lshrrev_b32_e32 v11, 24, v14
	v_and_b32_e32 v12, 0x7fffff, v14
	s_delay_alu instid0(VALU_DEP_2) | instskip(NEXT) | instid1(VALU_DEP_1)
	v_and_b32_e32 v0, 0x80, v11
	v_or_b32_e32 v10, 0x7e, v0
	v_cmpx_ne_u64_e32 0x7f800000, v[15:16]
	s_xor_b32 s3, exec_lo, s0
	s_cbranch_execz .LBB3_318
; %bb.305:
	v_dual_mov_b32 v16, v13 :: v_dual_and_b32 v15, 0x7fffffff, v14
	s_mov_b32 s0, exec_lo
	s_delay_alu instid0(VALU_DEP_1)
	v_cmpx_gt_u64_e32 0x43e00001, v[15:16]
	s_xor_b32 s4, exec_lo, s0
	s_cbranch_execz .LBB3_317
; %bb.306:
	s_mov_b32 s5, exec_lo
	v_mov_b32_e32 v10, 0
	v_mov_b32_e32 v11, 0
	v_cmpx_ne_u32_e32 0, v14
	s_cbranch_execz .LBB3_316
; %bb.307:
	v_bfe_u32 v23, v14, 23, 8
	v_mov_b32_e32 v14, 0
	s_delay_alu instid0(VALU_DEP_2) | instskip(SKIP_1) | instid1(VALU_DEP_2)
	v_sub_nc_u32_e64 v10, 0x79, v23 clamp
	v_cmp_eq_u32_e32 vcc_lo, 0, v23
	v_cndmask_b32_e64 v24, v10, 0x78, vcc_lo
	v_or_b32_e32 v10, 0x800000, v12
	s_delay_alu instid0(VALU_DEP_2) | instskip(NEXT) | instid1(VALU_DEP_2)
	v_add_nc_u32_e32 v11, 20, v24
	v_cndmask_b32_e32 v12, v10, v12, vcc_lo
	v_add_nc_u32_e32 v15, 19, v24
	s_delay_alu instid0(VALU_DEP_3) | instskip(NEXT) | instid1(VALU_DEP_3)
	v_lshlrev_b64 v[10:11], v11, -1
	v_lshrrev_b64 v[21:22], v24, v[12:13]
	s_delay_alu instid0(VALU_DEP_2) | instskip(NEXT) | instid1(VALU_DEP_2)
	v_not_b32_e32 v16, v11
	v_and_b32_e32 v13, 0x100000, v21
	s_delay_alu instid0(VALU_DEP_4) | instskip(SKIP_1) | instid1(VALU_DEP_4)
	v_not_b32_e32 v25, v10
	v_lshlrev_b64 v[10:11], v15, 1
	v_and_b32_e32 v16, 0, v16
	s_delay_alu instid0(VALU_DEP_4) | instskip(NEXT) | instid1(VALU_DEP_4)
	v_cmp_eq_u64_e64 s0, 0, v[13:14]
	v_and_b32_e32 v15, v12, v25
	v_add_nc_u32_e32 v12, 0xffffff88, v23
	s_delay_alu instid0(VALU_DEP_2) | instskip(NEXT) | instid1(VALU_DEP_2)
	v_cmp_eq_u64_e64 s1, v[15:16], v[10:11]
	v_cndmask_b32_e64 v10, v12, 0xffffff89, vcc_lo
	v_lshrrev_b32_e32 v11, 23, v21
                                        ; implicit-def: $vgpr15
	s_delay_alu instid0(VALU_DEP_3) | instskip(NEXT) | instid1(VALU_DEP_1)
	s_and_b32 vcc_lo, s0, s1
	v_add3_u32 v12, v10, v24, v11
	v_subrev_co_ci_u32_e32 v13, vcc_lo, 0, v21, vcc_lo
	s_mov_b32 s0, exec_lo
	s_delay_alu instid0(VALU_DEP_2) | instskip(NEXT) | instid1(VALU_DEP_2)
	v_add_nc_u32_e32 v16, -1, v12
	v_and_b32_e32 v10, 0xfffff, v13
	s_delay_alu instid0(VALU_DEP_1) | instskip(SKIP_1) | instid1(VALU_DEP_4)
	v_add_co_u32 v10, vcc_lo, v10, v21
	v_add_co_ci_u32_e32 v11, vcc_lo, 0, v22, vcc_lo
	v_cmpx_ne_u32_e32 0, v16
	s_xor_b32 s0, exec_lo, s0
; %bb.308:
	s_delay_alu instid0(VALU_DEP_3) | instskip(SKIP_1) | instid1(VALU_DEP_2)
	v_and_b32_e32 v13, 0x1000000, v10
	v_bfe_u32 v15, v10, 24, 1
	v_cmp_eq_u64_e32 vcc_lo, 0, v[13:14]
	s_delay_alu instid0(VALU_DEP_2)
	v_lshrrev_b64 v[10:11], v15, v[10:11]
	v_cndmask_b32_e32 v15, v12, v16, vcc_lo
; %bb.309:
	s_and_not1_saveexec_b32 s0, s0
; %bb.310:
	s_delay_alu instid0(VALU_DEP_2)
	v_bfe_u32 v15, v10, 23, 1
; %bb.311:
	s_or_b32 exec_lo, exec_lo, s0
	s_delay_alu instid0(VALU_DEP_3) | instskip(NEXT) | instid1(VALU_DEP_2)
	v_lshrrev_b64 v[10:11], 20, v[10:11]
	v_cmp_gt_i32_e32 vcc_lo, 16, v15
	v_cmp_ne_u32_e64 s0, 0, v15
	s_delay_alu instid0(VALU_DEP_3) | instskip(NEXT) | instid1(VALU_DEP_1)
	v_dual_cndmask_b32 v13, 0, v11 :: v_dual_cndmask_b32 v12, 7, v10
                                        ; implicit-def: $vgpr10_vgpr11
	v_cmp_ne_u64_e32 vcc_lo, 0, v[12:13]
	s_delay_alu instid0(VALU_DEP_3) | instskip(NEXT) | instid1(SALU_CYCLE_1)
	s_or_b32 s0, s0, vcc_lo
	s_and_saveexec_b32 s1, s0
	s_delay_alu instid0(SALU_CYCLE_1)
	s_xor_b32 s0, exec_lo, s1
; %bb.312:
	v_min_i32_e32 v10, 15, v15
	s_delay_alu instid0(VALU_DEP_1) | instskip(NEXT) | instid1(VALU_DEP_1)
	v_lshl_or_b32 v0, v10, 3, v0
	v_and_or_b32 v10, v12, 7, v0
                                        ; implicit-def: $vgpr0
; %bb.313:
	s_and_not1_saveexec_b32 s0, s0
; %bb.314:
	v_dual_mov_b32 v11, v1 :: v_dual_mov_b32 v10, v0
; %bb.315:
	s_or_b32 exec_lo, exec_lo, s0
.LBB3_316:
	s_delay_alu instid0(SALU_CYCLE_1)
	s_or_b32 exec_lo, exec_lo, s5
.LBB3_317:
	s_and_not1_saveexec_b32 s0, s4
	s_delay_alu instid0(SALU_CYCLE_1)
	s_or_b32 exec_lo, exec_lo, s0
                                        ; implicit-def: $vgpr11
                                        ; implicit-def: $vgpr12_vgpr13
.LBB3_318:
	s_and_not1_saveexec_b32 s0, s3
; %bb.319:
	v_cmp_eq_u64_e32 vcc_lo, 0, v[12:13]
	v_or_b32_e32 v0, 0x7f, v11
	s_delay_alu instid0(VALU_DEP_1)
	v_cndmask_b32_e32 v10, v0, v10, vcc_lo
; %bb.320:
	s_or_b32 exec_lo, exec_lo, s0
	v_lshrrev_b32_e32 v0, 16, v1
	;;#ASMSTART
	v_cvt_f32_f16 v0, v0;
	;;#ASMEND
	s_delay_alu instid0(VALU_DEP_1)
	v_dual_mul_f32 v0, v17, v0 :: v_dual_mov_b32 v13, 0
	s_mov_b32 s0, 0x43e00000
	s_delay_alu instid0(VALU_DEP_1) | instid1(SALU_CYCLE_1)
	v_minmax_f32 v14, v0, s0, 0xc3e00000
	s_mov_b32 s0, exec_lo
	s_delay_alu instid0(VALU_DEP_2) | instskip(NEXT) | instid1(VALU_DEP_2)
	v_mov_b32_e32 v16, v13
	v_lshrrev_b32_e32 v1, 24, v14
	v_and_b32_e32 v15, 0x7f800000, v14
	v_and_b32_e32 v12, 0x7fffff, v14
	s_delay_alu instid0(VALU_DEP_3) | instskip(NEXT) | instid1(VALU_DEP_1)
	v_and_b32_e32 v11, 0x80, v1
	v_or_b32_e32 v0, 0x7e, v11
	s_delay_alu instid0(VALU_DEP_4)
	v_cmpx_ne_u64_e32 0x7f800000, v[15:16]
	s_xor_b32 s3, exec_lo, s0
	s_cbranch_execz .LBB3_334
; %bb.321:
	v_dual_mov_b32 v16, v13 :: v_dual_and_b32 v15, 0x7fffffff, v14
	s_mov_b32 s0, exec_lo
	s_delay_alu instid0(VALU_DEP_1)
	v_cmpx_gt_u64_e32 0x43e00001, v[15:16]
	s_xor_b32 s4, exec_lo, s0
	s_cbranch_execz .LBB3_333
; %bb.322:
	s_mov_b32 s5, exec_lo
	v_mov_b32_e32 v0, 0
	v_mov_b32_e32 v1, 0
	v_cmpx_ne_u32_e32 0, v14
	s_cbranch_execz .LBB3_332
; %bb.323:
	v_bfe_u32 v23, v14, 23, 8
	v_mov_b32_e32 v14, 0
	s_delay_alu instid0(VALU_DEP_2) | instskip(SKIP_1) | instid1(VALU_DEP_2)
	v_sub_nc_u32_e64 v0, 0x79, v23 clamp
	v_cmp_eq_u32_e32 vcc_lo, 0, v23
	v_cndmask_b32_e64 v24, v0, 0x78, vcc_lo
	v_or_b32_e32 v0, 0x800000, v12
	s_delay_alu instid0(VALU_DEP_2) | instskip(NEXT) | instid1(VALU_DEP_2)
	v_add_nc_u32_e32 v1, 20, v24
	v_cndmask_b32_e32 v12, v0, v12, vcc_lo
	v_add_nc_u32_e32 v15, 19, v24
	s_delay_alu instid0(VALU_DEP_3) | instskip(NEXT) | instid1(VALU_DEP_3)
	v_lshlrev_b64 v[0:1], v1, -1
	v_lshrrev_b64 v[21:22], v24, v[12:13]
	s_delay_alu instid0(VALU_DEP_2) | instskip(NEXT) | instid1(VALU_DEP_2)
	v_not_b32_e32 v16, v1
	v_and_b32_e32 v13, 0x100000, v21
	s_delay_alu instid0(VALU_DEP_4) | instskip(SKIP_1) | instid1(VALU_DEP_4)
	v_not_b32_e32 v25, v0
	v_lshlrev_b64 v[0:1], v15, 1
	v_and_b32_e32 v16, 0, v16
	s_delay_alu instid0(VALU_DEP_4) | instskip(NEXT) | instid1(VALU_DEP_4)
	v_cmp_eq_u64_e64 s0, 0, v[13:14]
	v_and_b32_e32 v15, v12, v25
	v_add_nc_u32_e32 v12, 0xffffff88, v23
	s_delay_alu instid0(VALU_DEP_2) | instskip(NEXT) | instid1(VALU_DEP_2)
	v_cmp_eq_u64_e64 s1, v[15:16], v[0:1]
	v_cndmask_b32_e64 v0, v12, 0xffffff89, vcc_lo
	v_lshrrev_b32_e32 v1, 23, v21
                                        ; implicit-def: $vgpr15
	s_delay_alu instid0(VALU_DEP_3) | instskip(NEXT) | instid1(VALU_DEP_1)
	s_and_b32 vcc_lo, s0, s1
	v_add3_u32 v12, v0, v24, v1
	v_subrev_co_ci_u32_e32 v13, vcc_lo, 0, v21, vcc_lo
	s_mov_b32 s0, exec_lo
	s_delay_alu instid0(VALU_DEP_2) | instskip(NEXT) | instid1(VALU_DEP_2)
	v_add_nc_u32_e32 v16, -1, v12
	v_and_b32_e32 v0, 0xfffff, v13
	s_delay_alu instid0(VALU_DEP_1) | instskip(SKIP_1) | instid1(VALU_DEP_4)
	v_add_co_u32 v0, vcc_lo, v0, v21
	v_add_co_ci_u32_e32 v1, vcc_lo, 0, v22, vcc_lo
	v_cmpx_ne_u32_e32 0, v16
	s_xor_b32 s0, exec_lo, s0
; %bb.324:
	s_delay_alu instid0(VALU_DEP_3) | instskip(SKIP_1) | instid1(VALU_DEP_2)
	v_and_b32_e32 v13, 0x1000000, v0
	v_bfe_u32 v15, v0, 24, 1
	v_cmp_eq_u64_e32 vcc_lo, 0, v[13:14]
	s_delay_alu instid0(VALU_DEP_2)
	v_lshrrev_b64 v[0:1], v15, v[0:1]
	v_cndmask_b32_e32 v15, v12, v16, vcc_lo
; %bb.325:
	s_and_not1_saveexec_b32 s0, s0
; %bb.326:
	s_delay_alu instid0(VALU_DEP_2)
	v_bfe_u32 v15, v0, 23, 1
; %bb.327:
	s_or_b32 exec_lo, exec_lo, s0
	s_delay_alu instid0(VALU_DEP_3) | instskip(NEXT) | instid1(VALU_DEP_2)
	v_lshrrev_b64 v[0:1], 20, v[0:1]
	v_cmp_gt_i32_e32 vcc_lo, 16, v15
	v_cmp_ne_u32_e64 s0, 0, v15
	s_delay_alu instid0(VALU_DEP_3) | instskip(NEXT) | instid1(VALU_DEP_1)
	v_dual_cndmask_b32 v13, 0, v1 :: v_dual_cndmask_b32 v12, 7, v0
                                        ; implicit-def: $vgpr0_vgpr1
	v_cmp_ne_u64_e32 vcc_lo, 0, v[12:13]
	s_delay_alu instid0(VALU_DEP_3) | instskip(NEXT) | instid1(SALU_CYCLE_1)
	s_or_b32 s0, s0, vcc_lo
	s_and_saveexec_b32 s1, s0
	s_delay_alu instid0(SALU_CYCLE_1)
	s_xor_b32 s0, exec_lo, s1
; %bb.328:
	v_min_i32_e32 v0, 15, v15
	s_delay_alu instid0(VALU_DEP_1) | instskip(NEXT) | instid1(VALU_DEP_1)
	v_lshl_or_b32 v0, v0, 3, v11
                                        ; implicit-def: $vgpr11
	v_and_or_b32 v0, v12, 7, v0
; %bb.329:
	s_and_not1_saveexec_b32 s0, s0
; %bb.330:
	v_dual_mov_b32 v0, v11 :: v_dual_mov_b32 v1, v12
; %bb.331:
	s_or_b32 exec_lo, exec_lo, s0
.LBB3_332:
	s_delay_alu instid0(SALU_CYCLE_1)
	s_or_b32 exec_lo, exec_lo, s5
.LBB3_333:
	s_and_not1_saveexec_b32 s0, s4
	s_delay_alu instid0(SALU_CYCLE_1)
	s_or_b32 exec_lo, exec_lo, s0
                                        ; implicit-def: $vgpr1
                                        ; implicit-def: $vgpr12_vgpr13
.LBB3_334:
	s_and_not1_saveexec_b32 s0, s3
; %bb.335:
	v_cmp_eq_u64_e32 vcc_lo, 0, v[12:13]
	v_or_b32_e32 v1, 0x7f, v1
	s_delay_alu instid0(VALU_DEP_1)
	v_cndmask_b32_e32 v0, v1, v0, vcc_lo
; %bb.336:
	s_or_b32 exec_lo, exec_lo, s0
	v_dual_mov_b32 v14, 0 :: v_dual_and_b32 v1, 0xffff, v2
	;;#ASMSTART
	v_cvt_f32_f16 v1, v1;
	;;#ASMEND
	s_delay_alu instid0(VALU_DEP_1) | instskip(SKIP_1) | instid1(VALU_DEP_2)
	v_mul_f32_e32 v1, v17, v1
	s_mov_b32 s0, 0x43e00000
	v_mov_b32_e32 v22, v14
	s_delay_alu instid0(VALU_DEP_2) | instskip(SKIP_1) | instid1(VALU_DEP_1)
	v_minmax_f32 v15, v1, s0, 0xc3e00000
	s_mov_b32 s0, exec_lo
	v_lshrrev_b32_e32 v12, 24, v15
	v_and_b32_e32 v21, 0x7f800000, v15
	v_and_b32_e32 v13, 0x7fffff, v15
	s_delay_alu instid0(VALU_DEP_3) | instskip(NEXT) | instid1(VALU_DEP_1)
	v_and_b32_e32 v1, 0x80, v12
	v_or_b32_e32 v11, 0x7e, v1
	s_delay_alu instid0(VALU_DEP_4)
	v_cmpx_ne_u64_e32 0x7f800000, v[21:22]
	s_xor_b32 s3, exec_lo, s0
	s_cbranch_execz .LBB3_350
; %bb.337:
	v_dual_mov_b32 v22, v14 :: v_dual_and_b32 v21, 0x7fffffff, v15
	s_mov_b32 s0, exec_lo
	s_delay_alu instid0(VALU_DEP_1)
	v_cmpx_gt_u64_e32 0x43e00001, v[21:22]
	s_xor_b32 s4, exec_lo, s0
	s_cbranch_execz .LBB3_349
; %bb.338:
	s_mov_b32 s5, exec_lo
	v_mov_b32_e32 v11, 0
	v_mov_b32_e32 v12, 0
	v_cmpx_ne_u32_e32 0, v15
	s_cbranch_execz .LBB3_348
; %bb.339:
	v_bfe_u32 v16, v15, 23, 8
	v_mov_b32_e32 v15, 0
	s_delay_alu instid0(VALU_DEP_2) | instskip(SKIP_1) | instid1(VALU_DEP_2)
	v_sub_nc_u32_e64 v11, 0x79, v16 clamp
	v_cmp_eq_u32_e32 vcc_lo, 0, v16
	v_cndmask_b32_e64 v21, v11, 0x78, vcc_lo
	v_or_b32_e32 v11, 0x800000, v13
	s_delay_alu instid0(VALU_DEP_2) | instskip(NEXT) | instid1(VALU_DEP_2)
	v_add_nc_u32_e32 v12, 20, v21
	v_cndmask_b32_e32 v13, v11, v13, vcc_lo
	v_add_nc_u32_e32 v24, 19, v21
	s_delay_alu instid0(VALU_DEP_3) | instskip(NEXT) | instid1(VALU_DEP_3)
	v_lshlrev_b64 v[11:12], v12, -1
	v_lshrrev_b64 v[22:23], v21, v[13:14]
	s_delay_alu instid0(VALU_DEP_2) | instskip(NEXT) | instid1(VALU_DEP_2)
	v_not_b32_e32 v25, v12
	v_and_b32_e32 v14, 0x100000, v22
	s_delay_alu instid0(VALU_DEP_4) | instskip(SKIP_1) | instid1(VALU_DEP_4)
	v_not_b32_e32 v26, v11
	v_lshlrev_b64 v[11:12], v24, 1
	v_and_b32_e32 v25, 0, v25
	s_delay_alu instid0(VALU_DEP_4) | instskip(NEXT) | instid1(VALU_DEP_4)
	v_cmp_eq_u64_e64 s0, 0, v[14:15]
	v_and_b32_e32 v24, v13, v26
	v_add_nc_u32_e32 v13, 0xffffff88, v16
                                        ; implicit-def: $vgpr16
	s_delay_alu instid0(VALU_DEP_2) | instskip(NEXT) | instid1(VALU_DEP_2)
	v_cmp_eq_u64_e64 s1, v[24:25], v[11:12]
	v_cndmask_b32_e64 v11, v13, 0xffffff89, vcc_lo
	v_lshrrev_b32_e32 v12, 23, v22
	s_delay_alu instid0(VALU_DEP_3) | instskip(NEXT) | instid1(VALU_DEP_1)
	s_and_b32 vcc_lo, s0, s1
	v_add3_u32 v13, v11, v21, v12
	v_subrev_co_ci_u32_e32 v14, vcc_lo, 0, v22, vcc_lo
	s_mov_b32 s0, exec_lo
	s_delay_alu instid0(VALU_DEP_2) | instskip(NEXT) | instid1(VALU_DEP_2)
	v_add_nc_u32_e32 v21, -1, v13
	v_and_b32_e32 v11, 0xfffff, v14
	s_delay_alu instid0(VALU_DEP_1) | instskip(SKIP_1) | instid1(VALU_DEP_4)
	v_add_co_u32 v11, vcc_lo, v11, v22
	v_add_co_ci_u32_e32 v12, vcc_lo, 0, v23, vcc_lo
	v_cmpx_ne_u32_e32 0, v21
	s_xor_b32 s0, exec_lo, s0
; %bb.340:
	s_delay_alu instid0(VALU_DEP_3) | instskip(SKIP_1) | instid1(VALU_DEP_2)
	v_and_b32_e32 v14, 0x1000000, v11
	v_bfe_u32 v16, v11, 24, 1
	v_cmp_eq_u64_e32 vcc_lo, 0, v[14:15]
	s_delay_alu instid0(VALU_DEP_2)
	v_lshrrev_b64 v[11:12], v16, v[11:12]
	v_cndmask_b32_e32 v16, v13, v21, vcc_lo
; %bb.341:
	s_and_not1_saveexec_b32 s0, s0
; %bb.342:
	s_delay_alu instid0(VALU_DEP_2)
	v_bfe_u32 v16, v11, 23, 1
; %bb.343:
	s_or_b32 exec_lo, exec_lo, s0
	s_delay_alu instid0(VALU_DEP_3) | instskip(NEXT) | instid1(VALU_DEP_2)
	v_lshrrev_b64 v[11:12], 20, v[11:12]
	v_cmp_gt_i32_e32 vcc_lo, 16, v16
	v_cmp_ne_u32_e64 s0, 0, v16
	s_delay_alu instid0(VALU_DEP_3) | instskip(NEXT) | instid1(VALU_DEP_1)
	v_dual_cndmask_b32 v14, 0, v12 :: v_dual_cndmask_b32 v13, 7, v11
                                        ; implicit-def: $vgpr11_vgpr12
	v_cmp_ne_u64_e32 vcc_lo, 0, v[13:14]
	s_delay_alu instid0(VALU_DEP_3) | instskip(NEXT) | instid1(SALU_CYCLE_1)
	s_or_b32 s0, s0, vcc_lo
	s_and_saveexec_b32 s1, s0
	s_delay_alu instid0(SALU_CYCLE_1)
	s_xor_b32 s0, exec_lo, s1
; %bb.344:
	v_min_i32_e32 v11, 15, v16
	s_delay_alu instid0(VALU_DEP_1) | instskip(NEXT) | instid1(VALU_DEP_1)
	v_lshl_or_b32 v1, v11, 3, v1
	v_and_or_b32 v11, v13, 7, v1
                                        ; implicit-def: $vgpr1
; %bb.345:
	s_and_not1_saveexec_b32 s0, s0
; %bb.346:
	v_dual_mov_b32 v12, v2 :: v_dual_mov_b32 v11, v1
; %bb.347:
	s_or_b32 exec_lo, exec_lo, s0
.LBB3_348:
	s_delay_alu instid0(SALU_CYCLE_1)
	s_or_b32 exec_lo, exec_lo, s5
.LBB3_349:
	s_and_not1_saveexec_b32 s0, s4
	s_delay_alu instid0(SALU_CYCLE_1)
	s_or_b32 exec_lo, exec_lo, s0
                                        ; implicit-def: $vgpr12
                                        ; implicit-def: $vgpr13_vgpr14
.LBB3_350:
	s_and_not1_saveexec_b32 s0, s3
; %bb.351:
	v_cmp_eq_u64_e32 vcc_lo, 0, v[13:14]
	v_or_b32_e32 v1, 0x7f, v12
	s_delay_alu instid0(VALU_DEP_1)
	v_cndmask_b32_e32 v11, v1, v11, vcc_lo
; %bb.352:
	s_or_b32 exec_lo, exec_lo, s0
	v_lshrrev_b32_e32 v1, 16, v2
	;;#ASMSTART
	v_cvt_f32_f16 v1, v1;
	;;#ASMEND
	s_delay_alu instid0(VALU_DEP_1)
	v_dual_mul_f32 v1, v17, v1 :: v_dual_mov_b32 v14, 0
	s_mov_b32 s0, 0x43e00000
	s_delay_alu instid0(VALU_DEP_1) | instid1(SALU_CYCLE_1)
	v_minmax_f32 v15, v1, s0, 0xc3e00000
	s_mov_b32 s0, exec_lo
	s_delay_alu instid0(VALU_DEP_2) | instskip(NEXT) | instid1(VALU_DEP_2)
	v_mov_b32_e32 v22, v14
	v_lshrrev_b32_e32 v2, 24, v15
	v_and_b32_e32 v21, 0x7f800000, v15
	v_and_b32_e32 v13, 0x7fffff, v15
	s_delay_alu instid0(VALU_DEP_3) | instskip(NEXT) | instid1(VALU_DEP_1)
	v_and_b32_e32 v12, 0x80, v2
	v_or_b32_e32 v1, 0x7e, v12
	s_delay_alu instid0(VALU_DEP_4)
	v_cmpx_ne_u64_e32 0x7f800000, v[21:22]
	s_xor_b32 s3, exec_lo, s0
	s_cbranch_execz .LBB3_366
; %bb.353:
	v_dual_mov_b32 v22, v14 :: v_dual_and_b32 v21, 0x7fffffff, v15
	s_mov_b32 s0, exec_lo
	s_delay_alu instid0(VALU_DEP_1)
	v_cmpx_gt_u64_e32 0x43e00001, v[21:22]
	s_xor_b32 s4, exec_lo, s0
	s_cbranch_execz .LBB3_365
; %bb.354:
	s_mov_b32 s5, exec_lo
	v_mov_b32_e32 v1, 0
	v_mov_b32_e32 v2, 0
	v_cmpx_ne_u32_e32 0, v15
	s_cbranch_execz .LBB3_364
; %bb.355:
	v_bfe_u32 v16, v15, 23, 8
	v_mov_b32_e32 v15, 0
	s_delay_alu instid0(VALU_DEP_2) | instskip(SKIP_1) | instid1(VALU_DEP_2)
	v_sub_nc_u32_e64 v1, 0x79, v16 clamp
	v_cmp_eq_u32_e32 vcc_lo, 0, v16
	v_cndmask_b32_e64 v21, v1, 0x78, vcc_lo
	v_or_b32_e32 v1, 0x800000, v13
	s_delay_alu instid0(VALU_DEP_2) | instskip(NEXT) | instid1(VALU_DEP_2)
	v_add_nc_u32_e32 v2, 20, v21
	v_cndmask_b32_e32 v13, v1, v13, vcc_lo
	v_add_nc_u32_e32 v24, 19, v21
	s_delay_alu instid0(VALU_DEP_3) | instskip(NEXT) | instid1(VALU_DEP_3)
	v_lshlrev_b64 v[1:2], v2, -1
	v_lshrrev_b64 v[22:23], v21, v[13:14]
	s_delay_alu instid0(VALU_DEP_2) | instskip(NEXT) | instid1(VALU_DEP_2)
	v_not_b32_e32 v25, v2
	v_and_b32_e32 v14, 0x100000, v22
	s_delay_alu instid0(VALU_DEP_4) | instskip(SKIP_1) | instid1(VALU_DEP_4)
	v_not_b32_e32 v26, v1
	v_lshlrev_b64 v[1:2], v24, 1
	v_and_b32_e32 v25, 0, v25
	s_delay_alu instid0(VALU_DEP_4) | instskip(NEXT) | instid1(VALU_DEP_4)
	v_cmp_eq_u64_e64 s0, 0, v[14:15]
	v_and_b32_e32 v24, v13, v26
	v_add_nc_u32_e32 v13, 0xffffff88, v16
                                        ; implicit-def: $vgpr16
	s_delay_alu instid0(VALU_DEP_2) | instskip(NEXT) | instid1(VALU_DEP_2)
	v_cmp_eq_u64_e64 s1, v[24:25], v[1:2]
	v_cndmask_b32_e64 v1, v13, 0xffffff89, vcc_lo
	v_lshrrev_b32_e32 v2, 23, v22
	s_delay_alu instid0(VALU_DEP_3) | instskip(NEXT) | instid1(VALU_DEP_1)
	s_and_b32 vcc_lo, s0, s1
	v_add3_u32 v13, v1, v21, v2
	v_subrev_co_ci_u32_e32 v14, vcc_lo, 0, v22, vcc_lo
	s_mov_b32 s0, exec_lo
	s_delay_alu instid0(VALU_DEP_2) | instskip(NEXT) | instid1(VALU_DEP_2)
	v_add_nc_u32_e32 v21, -1, v13
	v_and_b32_e32 v1, 0xfffff, v14
	s_delay_alu instid0(VALU_DEP_1) | instskip(SKIP_1) | instid1(VALU_DEP_4)
	v_add_co_u32 v1, vcc_lo, v1, v22
	v_add_co_ci_u32_e32 v2, vcc_lo, 0, v23, vcc_lo
	v_cmpx_ne_u32_e32 0, v21
	s_xor_b32 s0, exec_lo, s0
; %bb.356:
	s_delay_alu instid0(VALU_DEP_3) | instskip(SKIP_1) | instid1(VALU_DEP_2)
	v_and_b32_e32 v14, 0x1000000, v1
	v_bfe_u32 v16, v1, 24, 1
	v_cmp_eq_u64_e32 vcc_lo, 0, v[14:15]
	s_delay_alu instid0(VALU_DEP_2)
	v_lshrrev_b64 v[1:2], v16, v[1:2]
	v_cndmask_b32_e32 v16, v13, v21, vcc_lo
; %bb.357:
	s_and_not1_saveexec_b32 s0, s0
; %bb.358:
	s_delay_alu instid0(VALU_DEP_2)
	v_bfe_u32 v16, v1, 23, 1
; %bb.359:
	s_or_b32 exec_lo, exec_lo, s0
	s_delay_alu instid0(VALU_DEP_3) | instskip(NEXT) | instid1(VALU_DEP_2)
	v_lshrrev_b64 v[1:2], 20, v[1:2]
	v_cmp_gt_i32_e32 vcc_lo, 16, v16
	v_cmp_ne_u32_e64 s0, 0, v16
	s_delay_alu instid0(VALU_DEP_3) | instskip(NEXT) | instid1(VALU_DEP_1)
	v_dual_cndmask_b32 v14, 0, v2 :: v_dual_cndmask_b32 v13, 7, v1
                                        ; implicit-def: $vgpr1_vgpr2
	v_cmp_ne_u64_e32 vcc_lo, 0, v[13:14]
	s_delay_alu instid0(VALU_DEP_3) | instskip(NEXT) | instid1(SALU_CYCLE_1)
	s_or_b32 s0, s0, vcc_lo
	s_and_saveexec_b32 s1, s0
	s_delay_alu instid0(SALU_CYCLE_1)
	s_xor_b32 s0, exec_lo, s1
; %bb.360:
	v_min_i32_e32 v1, 15, v16
	s_delay_alu instid0(VALU_DEP_1) | instskip(NEXT) | instid1(VALU_DEP_1)
	v_lshl_or_b32 v1, v1, 3, v12
                                        ; implicit-def: $vgpr12
	v_and_or_b32 v1, v13, 7, v1
; %bb.361:
	s_and_not1_saveexec_b32 s0, s0
; %bb.362:
	v_dual_mov_b32 v1, v12 :: v_dual_mov_b32 v2, v13
; %bb.363:
	s_or_b32 exec_lo, exec_lo, s0
.LBB3_364:
	s_delay_alu instid0(SALU_CYCLE_1)
	s_or_b32 exec_lo, exec_lo, s5
.LBB3_365:
	s_and_not1_saveexec_b32 s0, s4
	s_delay_alu instid0(SALU_CYCLE_1)
	s_or_b32 exec_lo, exec_lo, s0
                                        ; implicit-def: $vgpr2
                                        ; implicit-def: $vgpr13_vgpr14
.LBB3_366:
	s_and_not1_saveexec_b32 s0, s3
; %bb.367:
	v_cmp_eq_u64_e32 vcc_lo, 0, v[13:14]
	v_or_b32_e32 v2, 0x7f, v2
	s_delay_alu instid0(VALU_DEP_1)
	v_cndmask_b32_e32 v1, v2, v1, vcc_lo
; %bb.368:
	s_or_b32 exec_lo, exec_lo, s0
	v_dual_mov_b32 v15, 0 :: v_dual_and_b32 v2, 0xffff, v3
	;;#ASMSTART
	v_cvt_f32_f16 v2, v2;
	;;#ASMEND
	s_delay_alu instid0(VALU_DEP_1) | instskip(SKIP_1) | instid1(VALU_DEP_2)
	v_mul_f32_e32 v2, v17, v2
	s_mov_b32 s0, 0x43e00000
	v_mov_b32_e32 v22, v15
	s_delay_alu instid0(VALU_DEP_2) | instskip(SKIP_1) | instid1(VALU_DEP_1)
	v_minmax_f32 v16, v2, s0, 0xc3e00000
	s_mov_b32 s0, exec_lo
	v_and_b32_e32 v21, 0x7f800000, v16
	v_lshrrev_b32_e32 v13, 24, v16
	v_and_b32_e32 v14, 0x7fffff, v16
	s_delay_alu instid0(VALU_DEP_2) | instskip(NEXT) | instid1(VALU_DEP_1)
	v_and_b32_e32 v2, 0x80, v13
	v_or_b32_e32 v12, 0x7e, v2
	v_cmpx_ne_u64_e32 0x7f800000, v[21:22]
	s_xor_b32 s3, exec_lo, s0
	s_cbranch_execz .LBB3_382
; %bb.369:
	v_dual_mov_b32 v22, v15 :: v_dual_and_b32 v21, 0x7fffffff, v16
	s_mov_b32 s0, exec_lo
	s_delay_alu instid0(VALU_DEP_1)
	v_cmpx_gt_u64_e32 0x43e00001, v[21:22]
	s_xor_b32 s4, exec_lo, s0
	s_cbranch_execz .LBB3_381
; %bb.370:
	s_mov_b32 s5, exec_lo
	v_mov_b32_e32 v12, 0
	v_mov_b32_e32 v13, 0
	v_cmpx_ne_u32_e32 0, v16
	s_cbranch_execz .LBB3_380
; %bb.371:
	v_bfe_u32 v25, v16, 23, 8
	v_mov_b32_e32 v16, 0
	s_delay_alu instid0(VALU_DEP_2) | instskip(SKIP_1) | instid1(VALU_DEP_2)
	v_sub_nc_u32_e64 v12, 0x79, v25 clamp
	v_cmp_eq_u32_e32 vcc_lo, 0, v25
	v_cndmask_b32_e64 v26, v12, 0x78, vcc_lo
	v_or_b32_e32 v12, 0x800000, v14
	s_delay_alu instid0(VALU_DEP_2) | instskip(NEXT) | instid1(VALU_DEP_2)
	v_add_nc_u32_e32 v13, 20, v26
	v_cndmask_b32_e32 v14, v12, v14, vcc_lo
	v_add_nc_u32_e32 v21, 19, v26
	s_delay_alu instid0(VALU_DEP_3) | instskip(NEXT) | instid1(VALU_DEP_3)
	v_lshlrev_b64 v[12:13], v13, -1
	v_lshrrev_b64 v[23:24], v26, v[14:15]
	s_delay_alu instid0(VALU_DEP_2) | instskip(NEXT) | instid1(VALU_DEP_2)
	v_not_b32_e32 v22, v13
	v_and_b32_e32 v15, 0x100000, v23
	s_delay_alu instid0(VALU_DEP_4) | instskip(SKIP_1) | instid1(VALU_DEP_4)
	v_not_b32_e32 v27, v12
	v_lshlrev_b64 v[12:13], v21, 1
	v_and_b32_e32 v22, 0, v22
	s_delay_alu instid0(VALU_DEP_4) | instskip(NEXT) | instid1(VALU_DEP_4)
	v_cmp_eq_u64_e64 s0, 0, v[15:16]
	v_and_b32_e32 v21, v14, v27
	v_add_nc_u32_e32 v14, 0xffffff88, v25
	s_delay_alu instid0(VALU_DEP_2) | instskip(NEXT) | instid1(VALU_DEP_2)
	v_cmp_eq_u64_e64 s1, v[21:22], v[12:13]
	v_cndmask_b32_e64 v12, v14, 0xffffff89, vcc_lo
	v_lshrrev_b32_e32 v13, 23, v23
                                        ; implicit-def: $vgpr21
	s_delay_alu instid0(VALU_DEP_3) | instskip(NEXT) | instid1(VALU_DEP_1)
	s_and_b32 vcc_lo, s0, s1
	v_add3_u32 v14, v12, v26, v13
	v_subrev_co_ci_u32_e32 v15, vcc_lo, 0, v23, vcc_lo
	s_mov_b32 s0, exec_lo
	s_delay_alu instid0(VALU_DEP_2) | instskip(NEXT) | instid1(VALU_DEP_2)
	v_add_nc_u32_e32 v22, -1, v14
	v_and_b32_e32 v12, 0xfffff, v15
	s_delay_alu instid0(VALU_DEP_1) | instskip(SKIP_1) | instid1(VALU_DEP_4)
	v_add_co_u32 v12, vcc_lo, v12, v23
	v_add_co_ci_u32_e32 v13, vcc_lo, 0, v24, vcc_lo
	v_cmpx_ne_u32_e32 0, v22
	s_xor_b32 s0, exec_lo, s0
; %bb.372:
	s_delay_alu instid0(VALU_DEP_3) | instskip(SKIP_1) | instid1(VALU_DEP_2)
	v_and_b32_e32 v15, 0x1000000, v12
	v_bfe_u32 v21, v12, 24, 1
	v_cmp_eq_u64_e32 vcc_lo, 0, v[15:16]
	s_delay_alu instid0(VALU_DEP_2)
	v_lshrrev_b64 v[12:13], v21, v[12:13]
	v_cndmask_b32_e32 v21, v14, v22, vcc_lo
; %bb.373:
	s_and_not1_saveexec_b32 s0, s0
; %bb.374:
	s_delay_alu instid0(VALU_DEP_2)
	v_bfe_u32 v21, v12, 23, 1
; %bb.375:
	s_or_b32 exec_lo, exec_lo, s0
	s_delay_alu instid0(VALU_DEP_3) | instskip(NEXT) | instid1(VALU_DEP_2)
	v_lshrrev_b64 v[12:13], 20, v[12:13]
	v_cmp_gt_i32_e32 vcc_lo, 16, v21
	v_cmp_ne_u32_e64 s0, 0, v21
	s_delay_alu instid0(VALU_DEP_3) | instskip(NEXT) | instid1(VALU_DEP_1)
	v_dual_cndmask_b32 v15, 0, v13 :: v_dual_cndmask_b32 v14, 7, v12
                                        ; implicit-def: $vgpr12_vgpr13
	v_cmp_ne_u64_e32 vcc_lo, 0, v[14:15]
	s_delay_alu instid0(VALU_DEP_3) | instskip(NEXT) | instid1(SALU_CYCLE_1)
	s_or_b32 s0, s0, vcc_lo
	s_and_saveexec_b32 s1, s0
	s_delay_alu instid0(SALU_CYCLE_1)
	s_xor_b32 s0, exec_lo, s1
; %bb.376:
	v_min_i32_e32 v12, 15, v21
	s_delay_alu instid0(VALU_DEP_1) | instskip(NEXT) | instid1(VALU_DEP_1)
	v_lshl_or_b32 v2, v12, 3, v2
	v_and_or_b32 v12, v14, 7, v2
                                        ; implicit-def: $vgpr2
; %bb.377:
	s_and_not1_saveexec_b32 s0, s0
; %bb.378:
	v_dual_mov_b32 v13, v3 :: v_dual_mov_b32 v12, v2
; %bb.379:
	s_or_b32 exec_lo, exec_lo, s0
.LBB3_380:
	s_delay_alu instid0(SALU_CYCLE_1)
	s_or_b32 exec_lo, exec_lo, s5
.LBB3_381:
	s_and_not1_saveexec_b32 s0, s4
	s_delay_alu instid0(SALU_CYCLE_1)
	s_or_b32 exec_lo, exec_lo, s0
                                        ; implicit-def: $vgpr13
                                        ; implicit-def: $vgpr14_vgpr15
.LBB3_382:
	s_and_not1_saveexec_b32 s0, s3
; %bb.383:
	v_cmp_eq_u64_e32 vcc_lo, 0, v[14:15]
	v_or_b32_e32 v2, 0x7f, v13
	s_delay_alu instid0(VALU_DEP_1)
	v_cndmask_b32_e32 v12, v2, v12, vcc_lo
; %bb.384:
	s_or_b32 exec_lo, exec_lo, s0
	v_lshrrev_b32_e32 v2, 16, v3
	;;#ASMSTART
	v_cvt_f32_f16 v2, v2;
	;;#ASMEND
	s_delay_alu instid0(VALU_DEP_1)
	v_mul_f32_e32 v2, v17, v2
	s_mov_b32 s0, 0x43e00000
	s_delay_alu instid0(VALU_DEP_1) | instid1(SALU_CYCLE_1)
	v_minmax_f32 v3, v2, s0, 0xc3e00000
	v_mov_b32_e32 v16, 0
	s_mov_b32 s0, exec_lo
	s_delay_alu instid0(VALU_DEP_2) | instskip(SKIP_1) | instid1(VALU_DEP_3)
	v_and_b32_e32 v15, 0x7fffff, v3
	v_lshrrev_b32_e32 v14, 24, v3
	v_dual_mov_b32 v22, v16 :: v_dual_and_b32 v21, 0x7f800000, v3
	s_delay_alu instid0(VALU_DEP_2) | instskip(NEXT) | instid1(VALU_DEP_1)
	v_and_b32_e32 v2, 0x80, v14
	v_or_b32_e32 v13, 0x7e, v2
	s_delay_alu instid0(VALU_DEP_3)
	v_cmpx_ne_u64_e32 0x7f800000, v[21:22]
	s_xor_b32 s3, exec_lo, s0
	s_cbranch_execz .LBB3_398
; %bb.385:
	v_dual_mov_b32 v22, v16 :: v_dual_and_b32 v21, 0x7fffffff, v3
	s_mov_b32 s0, exec_lo
	s_delay_alu instid0(VALU_DEP_1)
	v_cmpx_gt_u64_e32 0x43e00001, v[21:22]
	s_xor_b32 s4, exec_lo, s0
	s_cbranch_execz .LBB3_397
; %bb.386:
	s_mov_b32 s5, exec_lo
	v_mov_b32_e32 v13, 0
	v_mov_b32_e32 v14, 0
	v_cmpx_ne_u32_e32 0, v3
	s_cbranch_execz .LBB3_396
; %bb.387:
	v_bfe_u32 v3, v3, 23, 8
	v_mov_b32_e32 v17, 0
	s_delay_alu instid0(VALU_DEP_2) | instskip(SKIP_2) | instid1(VALU_DEP_3)
	v_sub_nc_u32_e64 v13, 0x79, v3 clamp
	v_cmp_eq_u32_e32 vcc_lo, 0, v3
	v_add_nc_u32_e32 v3, 0xffffff88, v3
	v_cndmask_b32_e64 v21, v13, 0x78, vcc_lo
	v_or_b32_e32 v13, 0x800000, v15
	s_delay_alu instid0(VALU_DEP_3) | instskip(NEXT) | instid1(VALU_DEP_2)
	v_cndmask_b32_e64 v3, v3, 0xffffff89, vcc_lo
	v_dual_cndmask_b32 v15, v13, v15 :: v_dual_add_nc_u32 v14, 20, v21
	v_add_nc_u32_e32 v24, 19, v21
	s_delay_alu instid0(VALU_DEP_2) | instskip(NEXT) | instid1(VALU_DEP_3)
	v_lshlrev_b64 v[13:14], v14, -1
	v_lshrrev_b64 v[22:23], v21, v[15:16]
	s_delay_alu instid0(VALU_DEP_2) | instskip(NEXT) | instid1(VALU_DEP_3)
	v_not_b32_e32 v25, v14
	v_not_b32_e32 v26, v13
	v_lshlrev_b64 v[13:14], v24, 1
	s_delay_alu instid0(VALU_DEP_4) | instskip(NEXT) | instid1(VALU_DEP_4)
	v_and_b32_e32 v16, 0x100000, v22
	v_and_b32_e32 v25, 0, v25
	s_delay_alu instid0(VALU_DEP_4) | instskip(NEXT) | instid1(VALU_DEP_3)
	v_and_b32_e32 v24, v15, v26
	v_cmp_eq_u64_e64 s0, 0, v[16:17]
	s_delay_alu instid0(VALU_DEP_2) | instskip(SKIP_1) | instid1(VALU_DEP_1)
	v_cmp_eq_u64_e64 s1, v[24:25], v[13:14]
	v_lshrrev_b32_e32 v13, 23, v22
	v_add3_u32 v15, v3, v21, v13
	s_delay_alu instid0(VALU_DEP_3) | instskip(SKIP_2) | instid1(VALU_DEP_2)
	s_and_b32 vcc_lo, s0, s1
	s_mov_b32 s0, exec_lo
	v_subrev_co_ci_u32_e32 v14, vcc_lo, 0, v22, vcc_lo
	v_add_nc_u32_e32 v21, -1, v15
	s_delay_alu instid0(VALU_DEP_2) | instskip(NEXT) | instid1(VALU_DEP_1)
	v_and_b32_e32 v3, 0xfffff, v14
	v_add_co_u32 v13, vcc_lo, v3, v22
	v_add_co_ci_u32_e32 v14, vcc_lo, 0, v23, vcc_lo
                                        ; implicit-def: $vgpr3
	s_delay_alu instid0(VALU_DEP_4)
	v_cmpx_ne_u32_e32 0, v21
	s_xor_b32 s0, exec_lo, s0
; %bb.388:
	s_delay_alu instid0(VALU_DEP_3) | instskip(SKIP_1) | instid1(VALU_DEP_2)
	v_and_b32_e32 v16, 0x1000000, v13
	v_bfe_u32 v3, v13, 24, 1
	v_cmp_eq_u64_e32 vcc_lo, 0, v[16:17]
	s_delay_alu instid0(VALU_DEP_2)
	v_lshrrev_b64 v[13:14], v3, v[13:14]
	v_cndmask_b32_e32 v3, v15, v21, vcc_lo
; %bb.389:
	s_and_not1_saveexec_b32 s0, s0
; %bb.390:
	s_delay_alu instid0(VALU_DEP_2)
	v_bfe_u32 v3, v13, 23, 1
; %bb.391:
	s_or_b32 exec_lo, exec_lo, s0
	s_delay_alu instid0(VALU_DEP_3) | instskip(NEXT) | instid1(VALU_DEP_2)
	v_lshrrev_b64 v[13:14], 20, v[13:14]
	v_cmp_gt_i32_e32 vcc_lo, 16, v3
	v_cmp_ne_u32_e64 s0, 0, v3
	s_delay_alu instid0(VALU_DEP_3) | instskip(NEXT) | instid1(VALU_DEP_1)
	v_dual_cndmask_b32 v16, 0, v14 :: v_dual_cndmask_b32 v15, 7, v13
                                        ; implicit-def: $vgpr13_vgpr14
	v_cmp_ne_u64_e32 vcc_lo, 0, v[15:16]
	s_delay_alu instid0(VALU_DEP_3) | instskip(NEXT) | instid1(SALU_CYCLE_1)
	s_or_b32 s0, s0, vcc_lo
	s_and_saveexec_b32 s1, s0
	s_delay_alu instid0(SALU_CYCLE_1)
	s_xor_b32 s0, exec_lo, s1
; %bb.392:
	v_min_i32_e32 v3, 15, v3
	s_delay_alu instid0(VALU_DEP_1) | instskip(NEXT) | instid1(VALU_DEP_1)
	v_lshl_or_b32 v2, v3, 3, v2
	v_and_or_b32 v13, v15, 7, v2
                                        ; implicit-def: $vgpr2
; %bb.393:
	s_and_not1_saveexec_b32 s0, s0
; %bb.394:
	v_dual_mov_b32 v14, v3 :: v_dual_mov_b32 v13, v2
; %bb.395:
	s_or_b32 exec_lo, exec_lo, s0
.LBB3_396:
	s_delay_alu instid0(SALU_CYCLE_1)
	s_or_b32 exec_lo, exec_lo, s5
.LBB3_397:
	s_and_not1_saveexec_b32 s0, s4
	s_delay_alu instid0(SALU_CYCLE_1)
	s_or_b32 exec_lo, exec_lo, s0
                                        ; implicit-def: $vgpr14
                                        ; implicit-def: $vgpr15_vgpr16
.LBB3_398:
	s_and_not1_saveexec_b32 s0, s3
; %bb.399:
	v_cmp_eq_u64_e32 vcc_lo, 0, v[15:16]
	v_or_b32_e32 v2, 0x7f, v14
	s_delay_alu instid0(VALU_DEP_1)
	v_cndmask_b32_e32 v13, v2, v13, vcc_lo
; %bb.400:
	s_or_b32 exec_lo, exec_lo, s0
	v_lshlrev_b32_e32 v12, 16, v12
	v_lshlrev_b64 v[2:3], 3, v[4:5]
	v_lshlrev_b32_e32 v5, 16, v10
	v_lshlrev_b32_e32 v10, 24, v13
	;; [unrolled: 1-line block ×3, first 2 shown]
	v_and_b32_e32 v12, 0xff0000, v12
	v_lshlrev_b32_e32 v9, 8, v9
	v_perm_b32 v0, v0, v5, 0x4020c0c
	v_and_b32_e32 v5, 0xff, v11
	v_and_b32_e32 v11, 0xff00, v1
	v_or_b32_e32 v10, v10, v12
	v_and_b32_e32 v8, 0xff, v8
	v_and_or_b32 v9, 0xff00, v9, v0
	v_add_co_u32 v0, vcc_lo, v18, v2
	v_add_co_ci_u32_e32 v1, vcc_lo, v19, v3, vcc_lo
	v_or3_b32 v3, v10, v11, v5
	s_delay_alu instid0(VALU_DEP_4)
	v_or_b32_e32 v2, v9, v8
	global_store_b64 v[0:1], v[2:3], off
.LBB3_401:
	s_or_b32 exec_lo, exec_lo, s2
	v_cmp_eq_u32_e32 vcc_lo, 0, v4
	s_cmp_lg_u64 s[6:7], 0
	s_cselect_b32 s0, -1, 0
	s_delay_alu instid0(SALU_CYCLE_1) | instskip(NEXT) | instid1(SALU_CYCLE_1)
	s_and_b32 s0, s0, vcc_lo
	s_and_saveexec_b32 s1, s0
	s_cbranch_execz .LBB3_403
; %bb.402:
	v_add_co_u32 v0, vcc_lo, s6, v6
	v_add_co_ci_u32_e32 v1, vcc_lo, s7, v7, vcc_lo
	global_store_b32 v[0:1], v20, off
.LBB3_403:
	s_nop 0
	s_sendmsg sendmsg(MSG_DEALLOC_VGPRS)
	s_endpgm
	.section	.rodata,"a",@progbits
	.p2align	6, 0x0
	.amdhsa_kernel _ZN4vllm24merge_attn_states_kernelItN3c1013Float8_e4m3fnELj128ELb1EEEvPT0_PfPKT_PKfS8_SA_jjjjjjSA_
		.amdhsa_group_segment_fixed_size 0
		.amdhsa_private_segment_fixed_size 0
		.amdhsa_kernarg_size 80
		.amdhsa_user_sgpr_count 15
		.amdhsa_user_sgpr_dispatch_ptr 0
		.amdhsa_user_sgpr_queue_ptr 0
		.amdhsa_user_sgpr_kernarg_segment_ptr 1
		.amdhsa_user_sgpr_dispatch_id 0
		.amdhsa_user_sgpr_private_segment_size 0
		.amdhsa_wavefront_size32 1
		.amdhsa_uses_dynamic_stack 0
		.amdhsa_enable_private_segment 0
		.amdhsa_system_sgpr_workgroup_id_x 1
		.amdhsa_system_sgpr_workgroup_id_y 0
		.amdhsa_system_sgpr_workgroup_id_z 0
		.amdhsa_system_sgpr_workgroup_info 0
		.amdhsa_system_vgpr_workitem_id 0
		.amdhsa_next_free_vgpr 38
		.amdhsa_next_free_sgpr 24
		.amdhsa_reserve_vcc 1
		.amdhsa_float_round_mode_32 0
		.amdhsa_float_round_mode_16_64 0
		.amdhsa_float_denorm_mode_32 3
		.amdhsa_float_denorm_mode_16_64 3
		.amdhsa_dx10_clamp 1
		.amdhsa_ieee_mode 1
		.amdhsa_fp16_overflow 0
		.amdhsa_workgroup_processor_mode 1
		.amdhsa_memory_ordered 1
		.amdhsa_forward_progress 0
		.amdhsa_shared_vgpr_count 0
		.amdhsa_exception_fp_ieee_invalid_op 0
		.amdhsa_exception_fp_denorm_src 0
		.amdhsa_exception_fp_ieee_div_zero 0
		.amdhsa_exception_fp_ieee_overflow 0
		.amdhsa_exception_fp_ieee_underflow 0
		.amdhsa_exception_fp_ieee_inexact 0
		.amdhsa_exception_int_div_zero 0
	.end_amdhsa_kernel
	.section	.text._ZN4vllm24merge_attn_states_kernelItN3c1013Float8_e4m3fnELj128ELb1EEEvPT0_PfPKT_PKfS8_SA_jjjjjjSA_,"axG",@progbits,_ZN4vllm24merge_attn_states_kernelItN3c1013Float8_e4m3fnELj128ELb1EEEvPT0_PfPKT_PKfS8_SA_jjjjjjSA_,comdat
.Lfunc_end3:
	.size	_ZN4vllm24merge_attn_states_kernelItN3c1013Float8_e4m3fnELj128ELb1EEEvPT0_PfPKT_PKfS8_SA_jjjjjjSA_, .Lfunc_end3-_ZN4vllm24merge_attn_states_kernelItN3c1013Float8_e4m3fnELj128ELb1EEEvPT0_PfPKT_PKfS8_SA_jjjjjjSA_
                                        ; -- End function
	.section	.AMDGPU.csdata,"",@progbits
; Kernel info:
; codeLenInByte = 17544
; NumSgprs: 26
; NumVgprs: 38
; ScratchSize: 0
; MemoryBound: 0
; FloatMode: 240
; IeeeMode: 1
; LDSByteSize: 0 bytes/workgroup (compile time only)
; SGPRBlocks: 3
; VGPRBlocks: 4
; NumSGPRsForWavesPerEU: 26
; NumVGPRsForWavesPerEU: 38
; Occupancy: 16
; WaveLimiterHint : 0
; COMPUTE_PGM_RSRC2:SCRATCH_EN: 0
; COMPUTE_PGM_RSRC2:USER_SGPR: 15
; COMPUTE_PGM_RSRC2:TRAP_HANDLER: 0
; COMPUTE_PGM_RSRC2:TGID_X_EN: 1
; COMPUTE_PGM_RSRC2:TGID_Y_EN: 0
; COMPUTE_PGM_RSRC2:TGID_Z_EN: 0
; COMPUTE_PGM_RSRC2:TIDIG_COMP_CNT: 0
	.section	.text._ZN4vllm24merge_attn_states_kernelItN3c1015Float8_e4m3fnuzELj128ELb1EEEvPT0_PfPKT_PKfS8_SA_jjjjjjSA_,"axG",@progbits,_ZN4vllm24merge_attn_states_kernelItN3c1015Float8_e4m3fnuzELj128ELb1EEEvPT0_PfPKT_PKfS8_SA_jjjjjjSA_,comdat
	.protected	_ZN4vllm24merge_attn_states_kernelItN3c1015Float8_e4m3fnuzELj128ELb1EEEvPT0_PfPKT_PKfS8_SA_jjjjjjSA_ ; -- Begin function _ZN4vllm24merge_attn_states_kernelItN3c1015Float8_e4m3fnuzELj128ELb1EEEvPT0_PfPKT_PKfS8_SA_jjjjjjSA_
	.globl	_ZN4vllm24merge_attn_states_kernelItN3c1015Float8_e4m3fnuzELj128ELb1EEEvPT0_PfPKT_PKfS8_SA_jjjjjjSA_
	.p2align	8
	.type	_ZN4vllm24merge_attn_states_kernelItN3c1015Float8_e4m3fnuzELj128ELb1EEEvPT0_PfPKT_PKfS8_SA_jjjjjjSA_,@function
_ZN4vllm24merge_attn_states_kernelItN3c1015Float8_e4m3fnuzELj128ELb1EEEvPT0_PfPKT_PKfS8_SA_jjjjjjSA_: ; @_ZN4vllm24merge_attn_states_kernelItN3c1015Float8_e4m3fnuzELj128ELb1EEEvPT0_PfPKT_PKfS8_SA_jjjjjjSA_
; %bb.0:
	s_load_b128 s[16:19], s[0:1], 0x30
	v_lshl_add_u32 v0, s15, 7, v0
	s_waitcnt lgkmcnt(0)
	s_lshr_b32 s2, s18, 3
	s_mul_i32 s3, s17, s16
	s_delay_alu instid0(SALU_CYCLE_1) | instskip(NEXT) | instid1(SALU_CYCLE_1)
	s_mul_i32 s3, s3, s2
	v_cmp_gt_u32_e32 vcc_lo, s3, v0
	s_and_saveexec_b32 s3, vcc_lo
	s_cbranch_execz .LBB4_259
; %bb.1:
	v_cvt_f32_u32_e32 v1, s2
	v_cvt_f32_u32_e32 v3, s17
	s_sub_i32 s3, 0, s2
	s_clause 0x1
	s_load_b128 s[20:23], s[0:1], 0x40
	s_load_b128 s[12:15], s[0:1], 0x20
	v_rcp_iflag_f32_e32 v1, v1
	v_rcp_iflag_f32_e32 v3, v3
	s_sub_i32 s4, 0, s17
	s_waitcnt_depctr 0xfff
	v_mul_f32_e32 v1, 0x4f7ffffe, v1
	s_delay_alu instid0(VALU_DEP_1) | instskip(NEXT) | instid1(VALU_DEP_1)
	v_cvt_u32_f32_e32 v1, v1
	v_mul_lo_u32 v2, s3, v1
	s_waitcnt lgkmcnt(0)
	s_load_b32 s3, s[22:23], 0x0
	s_delay_alu instid0(VALU_DEP_1) | instskip(NEXT) | instid1(VALU_DEP_1)
	v_mul_hi_u32 v2, v1, v2
	v_dual_mul_f32 v2, 0x4f7ffffe, v3 :: v_dual_add_nc_u32 v1, v1, v2
	s_waitcnt lgkmcnt(0)
	v_div_scale_f32 v6, null, s3, s3, 1.0
	s_delay_alu instid0(VALU_DEP_2) | instskip(NEXT) | instid1(VALU_DEP_3)
	v_mul_hi_u32 v1, v0, v1
	v_cvt_u32_f32_e32 v2, v2
	s_delay_alu instid0(VALU_DEP_1) | instskip(SKIP_1) | instid1(VALU_DEP_3)
	v_mul_lo_u32 v4, s4, v2
	s_load_b256 s[4:11], s[0:1], 0x0
	v_mul_lo_u32 v3, v1, s2
	v_add_nc_u32_e32 v5, 1, v1
	s_delay_alu instid0(VALU_DEP_3) | instskip(NEXT) | instid1(VALU_DEP_3)
	v_mul_hi_u32 v4, v2, v4
	v_sub_nc_u32_e32 v3, v0, v3
	s_delay_alu instid0(VALU_DEP_1) | instskip(SKIP_1) | instid1(VALU_DEP_4)
	v_subrev_nc_u32_e32 v7, s2, v3
	v_cmp_le_u32_e32 vcc_lo, s2, v3
	v_dual_cndmask_b32 v1, v1, v5 :: v_dual_add_nc_u32 v2, v2, v4
	s_delay_alu instid0(VALU_DEP_3) | instskip(SKIP_1) | instid1(VALU_DEP_2)
	v_cndmask_b32_e32 v3, v3, v7, vcc_lo
	v_rcp_f32_e32 v5, v6
	v_add_nc_u32_e32 v7, 1, v1
	s_delay_alu instid0(VALU_DEP_2) | instskip(NEXT) | instid1(VALU_DEP_2)
	v_cmp_le_u32_e32 vcc_lo, s2, v3
	v_cndmask_b32_e32 v7, v1, v7, vcc_lo
	s_waitcnt_depctr 0xfff
	v_fma_f32 v1, -v6, v5, 1.0
	v_div_scale_f32 v3, vcc_lo, 1.0, s3, 1.0
	v_mul_hi_u32 v2, v7, v2
	s_delay_alu instid0(VALU_DEP_3) | instskip(NEXT) | instid1(VALU_DEP_1)
	v_fmac_f32_e32 v5, v1, v5
	v_mul_f32_e32 v4, v3, v5
	s_delay_alu instid0(VALU_DEP_3) | instskip(SKIP_1) | instid1(VALU_DEP_3)
	v_mul_lo_u32 v1, v2, s17
	v_add_nc_u32_e32 v9, 1, v2
	v_fma_f32 v8, -v6, v4, v3
	s_delay_alu instid0(VALU_DEP_3) | instskip(NEXT) | instid1(VALU_DEP_2)
	v_sub_nc_u32_e32 v1, v7, v1
	v_fmac_f32_e32 v4, v8, v5
	s_delay_alu instid0(VALU_DEP_2) | instskip(SKIP_1) | instid1(VALU_DEP_3)
	v_subrev_nc_u32_e32 v8, s17, v1
	v_cmp_le_u32_e64 s0, s17, v1
	v_fma_f32 v3, -v6, v4, v3
	s_delay_alu instid0(VALU_DEP_2) | instskip(NEXT) | instid1(VALU_DEP_4)
	v_cndmask_b32_e64 v9, v2, v9, s0
	v_cndmask_b32_e64 v6, v1, v8, s0
	v_mov_b32_e32 v2, 0
	s_delay_alu instid0(VALU_DEP_4) | instskip(NEXT) | instid1(VALU_DEP_4)
	v_div_fmas_f32 v3, v3, v5, v4
	v_add_nc_u32_e32 v8, 1, v9
	s_delay_alu instid0(VALU_DEP_4)
	v_cmp_le_u32_e64 s0, s17, v6
	v_mul_lo_u32 v10, v7, s2
	v_mul_lo_u32 v1, v7, s19
	;; [unrolled: 1-line block ×3, first 2 shown]
	v_div_fixup_f32 v18, v3, s3, 1.0
	v_cndmask_b32_e64 v6, v9, v8, s0
	v_sub_nc_u32_e32 v4, v0, v10
	v_lshlrev_b64 v[0:1], 1, v[1:2]
	s_delay_alu instid0(VALU_DEP_3) | instskip(SKIP_2) | instid1(VALU_DEP_1)
	v_mul_lo_u32 v8, v6, s17
	s_waitcnt lgkmcnt(0)
	v_add_co_u32 v16, s0, s4, v11
	v_add_co_ci_u32_e64 v17, null, s5, 0, s0
	s_delay_alu instid0(VALU_DEP_4)
	v_add_co_u32 v2, vcc_lo, s12, v0
	v_lshlrev_b32_e32 v5, 3, v4
	v_add_co_ci_u32_e32 v3, vcc_lo, s13, v1, vcc_lo
	v_sub_nc_u32_e32 v15, v7, v8
	s_mov_b32 s0, exec_lo
	v_cmpx_le_u32_e64 s21, v6
	s_xor_b32 s2, exec_lo, s0
	s_cbranch_execz .LBB4_87
; %bb.2:
	s_mov_b32 s3, exec_lo
	v_cmpx_gt_u32_e64 s18, v5
	s_cbranch_execz .LBB4_84
; %bb.3:
	v_mov_b32_e32 v5, 0
	s_mov_b32 s0, 0x43600000
	s_delay_alu instid0(VALU_DEP_1) | instskip(SKIP_1) | instid1(VALU_DEP_2)
	v_lshlrev_b64 v[0:1], 4, v[4:5]
	v_mov_b32_e32 v8, v5
	v_add_co_u32 v0, vcc_lo, v2, v0
	s_delay_alu instid0(VALU_DEP_3) | instskip(SKIP_4) | instid1(VALU_DEP_1)
	v_add_co_ci_u32_e32 v1, vcc_lo, v3, v1, vcc_lo
	global_load_b128 v[0:3], v[0:1], off
	s_waitcnt vmcnt(0)
	v_and_b32_e32 v7, 0xffff, v0
	;;#ASMSTART
	v_cvt_f32_f16 v7, v7;
	;;#ASMEND
	v_mul_f32_e32 v7, v18, v7
	s_delay_alu instid0(VALU_DEP_1) | instskip(NEXT) | instid1(VALU_DEP_1)
	v_minmax_f32 v9, v7, s0, 0xc3600000
	v_and_b32_e32 v7, 0x7f800000, v9
	v_lshrrev_b32_e32 v11, 24, v9
	s_delay_alu instid0(VALU_DEP_2) | instskip(NEXT) | instid1(VALU_DEP_2)
	v_cmp_ne_u64_e32 vcc_lo, 0x7f800000, v[7:8]
	v_or_b32_e32 v7, 0x7f, v11
	s_and_saveexec_b32 s0, vcc_lo
	s_delay_alu instid0(SALU_CYCLE_1)
	s_xor_b32 s4, exec_lo, s0
	s_cbranch_execz .LBB4_13
; %bb.4:
	v_dual_mov_b32 v13, v5 :: v_dual_and_b32 v12, 0x7fffffff, v9
	s_mov_b32 s0, exec_lo
	s_delay_alu instid0(VALU_DEP_1)
	v_cmpx_gt_u64_e32 0x43700001, v[12:13]
	s_xor_b32 s5, exec_lo, s0
	s_cbranch_execz .LBB4_12
; %bb.5:
	s_mov_b32 s12, exec_lo
	v_mov_b32_e32 v7, 0
	v_mov_b32_e32 v8, 0
	v_cmpx_ne_u32_e32 0, v9
	s_cbranch_execz .LBB4_11
; %bb.6:
	v_bfe_u32 v14, v9, 23, 8
	v_dual_mov_b32 v8, 0 :: v_dual_and_b32 v9, 0x7fffff, v9
	s_delay_alu instid0(VALU_DEP_2) | instskip(SKIP_2) | instid1(VALU_DEP_3)
	v_sub_nc_u32_e64 v7, 0x78, v14 clamp
	v_cmp_eq_u32_e32 vcc_lo, 0, v14
	v_add_nc_u32_e32 v14, 0xffffff89, v14
	v_cndmask_b32_e64 v21, v7, 0x77, vcc_lo
	v_or_b32_e32 v7, 0x800000, v9
	s_delay_alu instid0(VALU_DEP_2) | instskip(NEXT) | instid1(VALU_DEP_2)
	v_add_nc_u32_e32 v10, 20, v21
	v_cndmask_b32_e32 v7, v7, v9, vcc_lo
	v_add_nc_u32_e32 v12, 19, v21
	s_delay_alu instid0(VALU_DEP_3) | instskip(SKIP_1) | instid1(VALU_DEP_4)
	v_lshlrev_b64 v[9:10], v10, -1
	v_mov_b32_e32 v10, v8
	v_lshrrev_b64 v[19:20], v21, v[7:8]
	s_delay_alu instid0(VALU_DEP_4) | instskip(NEXT) | instid1(VALU_DEP_4)
	v_lshlrev_b64 v[12:13], v12, 1
	v_not_b32_e32 v9, v9
	s_delay_alu instid0(VALU_DEP_1) | instskip(NEXT) | instid1(VALU_DEP_4)
	v_and_b32_e32 v9, v7, v9
	v_and_b32_e32 v7, 0x100000, v19
	s_delay_alu instid0(VALU_DEP_2) | instskip(NEXT) | instid1(VALU_DEP_2)
	v_cmp_eq_u64_e64 s0, v[9:10], v[12:13]
	v_cmp_eq_u64_e64 s1, 0, v[7:8]
	v_cndmask_b32_e64 v7, v14, 0xffffff8a, vcc_lo
	v_lshrrev_b32_e32 v9, 23, v19
	s_delay_alu instid0(VALU_DEP_3) | instskip(NEXT) | instid1(VALU_DEP_1)
	s_and_b32 vcc_lo, s1, s0
	v_add3_u32 v12, v7, v21, v9
	v_subrev_co_ci_u32_e32 v10, vcc_lo, 0, v19, vcc_lo
	s_mov_b32 s0, exec_lo
	s_delay_alu instid0(VALU_DEP_2) | instskip(NEXT) | instid1(VALU_DEP_2)
	v_add_nc_u32_e32 v13, -1, v12
	v_and_b32_e32 v7, 0xfffff, v10
	s_delay_alu instid0(VALU_DEP_1) | instskip(SKIP_1) | instid1(VALU_DEP_4)
	v_add_co_u32 v9, vcc_lo, v7, v19
	v_add_co_ci_u32_e32 v10, vcc_lo, 0, v20, vcc_lo
                                        ; implicit-def: $vgpr7
	v_cmpx_ne_u32_e32 0, v13
	s_xor_b32 s0, exec_lo, s0
; %bb.7:
	s_delay_alu instid0(VALU_DEP_3) | instskip(SKIP_1) | instid1(VALU_DEP_2)
	v_and_b32_e32 v7, 0x1000000, v9
	v_bfe_u32 v14, v9, 24, 1
	v_cmp_eq_u64_e32 vcc_lo, 0, v[7:8]
	s_delay_alu instid0(VALU_DEP_2)
	v_lshrrev_b64 v[9:10], v14, v[9:10]
	v_cndmask_b32_e32 v7, v12, v13, vcc_lo
; %bb.8:
	s_and_not1_saveexec_b32 s0, s0
; %bb.9:
	s_delay_alu instid0(VALU_DEP_2)
	v_bfe_u32 v7, v9, 23, 1
; %bb.10:
	s_or_b32 exec_lo, exec_lo, s0
	s_delay_alu instid0(VALU_DEP_3) | instskip(NEXT) | instid1(VALU_DEP_2)
	v_lshrrev_b64 v[8:9], 20, v[9:10]
	v_cmp_gt_i32_e32 vcc_lo, 16, v7
	v_and_b32_e32 v10, 0x80, v11
	v_min_i32_e32 v11, 15, v7
	v_cmp_eq_u32_e64 s0, 0, v7
	v_dual_cndmask_b32 v9, 0, v9 :: v_dual_cndmask_b32 v8, 7, v8
	s_delay_alu instid0(VALU_DEP_3) | instskip(NEXT) | instid1(VALU_DEP_2)
	v_lshl_or_b32 v10, v11, 3, v10
	v_cmp_eq_u64_e32 vcc_lo, 0, v[8:9]
	s_delay_alu instid0(VALU_DEP_2)
	v_and_or_b32 v7, v8, 7, v10
	s_and_b32 s0, s0, vcc_lo
	s_delay_alu instid0(VALU_DEP_1) | instid1(SALU_CYCLE_1)
	v_cndmask_b32_e64 v7, v7, 0, s0
.LBB4_11:
	s_or_b32 exec_lo, exec_lo, s12
.LBB4_12:
	s_and_not1_saveexec_b32 s0, s5
	s_delay_alu instid0(SALU_CYCLE_1)
	s_or_b32 exec_lo, exec_lo, s0
.LBB4_13:
	s_and_not1_saveexec_b32 s0, s4
	s_delay_alu instid0(SALU_CYCLE_1) | instskip(SKIP_2) | instid1(VALU_DEP_1)
	s_or_b32 exec_lo, exec_lo, s0
	v_lshrrev_b32_e32 v0, 16, v0
	;;#ASMSTART
	v_cvt_f32_f16 v0, v0;
	;;#ASMEND
	v_mul_f32_e32 v0, v18, v0
	s_mov_b32 s0, 0x43600000
	v_mov_b32_e32 v10, 0
	s_delay_alu instid0(VALU_DEP_2) | instskip(SKIP_1) | instid1(VALU_DEP_1)
	v_minmax_f32 v11, v0, s0, 0xc3600000
	s_mov_b32 s0, exec_lo
	v_and_b32_e32 v9, 0x7f800000, v11
	v_lshrrev_b32_e32 v0, 24, v11
	s_delay_alu instid0(VALU_DEP_1) | instskip(NEXT) | instid1(VALU_DEP_3)
	v_or_b32_e32 v8, 0x7f, v0
	v_cmpx_ne_u64_e32 0x7f800000, v[9:10]
	s_xor_b32 s4, exec_lo, s0
	s_cbranch_execz .LBB4_23
; %bb.14:
	v_and_b32_e32 v9, 0x7fffffff, v11
	s_mov_b32 s0, exec_lo
	s_delay_alu instid0(VALU_DEP_1)
	v_cmpx_gt_u64_e32 0x43700001, v[9:10]
	s_xor_b32 s5, exec_lo, s0
	s_cbranch_execz .LBB4_22
; %bb.15:
	s_mov_b32 s12, exec_lo
	v_mov_b32_e32 v8, 0
	v_mov_b32_e32 v9, 0
	v_cmpx_ne_u32_e32 0, v11
	s_cbranch_execz .LBB4_21
; %bb.16:
	v_bfe_u32 v14, v11, 23, 8
	v_dual_mov_b32 v9, 0 :: v_dual_and_b32 v10, 0x7fffff, v11
	s_delay_alu instid0(VALU_DEP_2) | instskip(SKIP_2) | instid1(VALU_DEP_3)
	v_sub_nc_u32_e64 v8, 0x78, v14 clamp
	v_cmp_eq_u32_e32 vcc_lo, 0, v14
	v_add_nc_u32_e32 v14, 0xffffff89, v14
	v_cndmask_b32_e64 v21, v8, 0x77, vcc_lo
	v_or_b32_e32 v8, 0x800000, v10
	s_delay_alu instid0(VALU_DEP_1) | instskip(SKIP_1) | instid1(VALU_DEP_2)
	v_dual_cndmask_b32 v8, v8, v10 :: v_dual_add_nc_u32 v11, 20, v21
	v_add_nc_u32_e32 v12, 19, v21
	v_lshlrev_b64 v[10:11], v11, -1
	v_mov_b32_e32 v11, v9
	s_delay_alu instid0(VALU_DEP_4) | instskip(NEXT) | instid1(VALU_DEP_4)
	v_lshrrev_b64 v[19:20], v21, v[8:9]
	v_lshlrev_b64 v[12:13], v12, 1
	s_delay_alu instid0(VALU_DEP_4) | instskip(NEXT) | instid1(VALU_DEP_1)
	v_not_b32_e32 v10, v10
	v_and_b32_e32 v10, v8, v10
	s_delay_alu instid0(VALU_DEP_4) | instskip(NEXT) | instid1(VALU_DEP_2)
	v_and_b32_e32 v8, 0x100000, v19
	v_cmp_eq_u64_e64 s0, v[10:11], v[12:13]
	s_delay_alu instid0(VALU_DEP_2) | instskip(SKIP_2) | instid1(VALU_DEP_3)
	v_cmp_eq_u64_e64 s1, 0, v[8:9]
	v_cndmask_b32_e64 v8, v14, 0xffffff8a, vcc_lo
	v_lshrrev_b32_e32 v10, 23, v19
	s_and_b32 vcc_lo, s1, s0
	s_delay_alu instid0(VALU_DEP_1) | instskip(SKIP_2) | instid1(VALU_DEP_2)
	v_add3_u32 v12, v8, v21, v10
	v_subrev_co_ci_u32_e32 v11, vcc_lo, 0, v19, vcc_lo
	s_mov_b32 s0, exec_lo
	v_add_nc_u32_e32 v13, -1, v12
	s_delay_alu instid0(VALU_DEP_2) | instskip(NEXT) | instid1(VALU_DEP_1)
	v_and_b32_e32 v8, 0xfffff, v11
	v_add_co_u32 v10, vcc_lo, v8, v19
	v_add_co_ci_u32_e32 v11, vcc_lo, 0, v20, vcc_lo
                                        ; implicit-def: $vgpr8
	s_delay_alu instid0(VALU_DEP_4)
	v_cmpx_ne_u32_e32 0, v13
	s_xor_b32 s0, exec_lo, s0
; %bb.17:
	s_delay_alu instid0(VALU_DEP_3) | instskip(SKIP_1) | instid1(VALU_DEP_2)
	v_and_b32_e32 v8, 0x1000000, v10
	v_bfe_u32 v14, v10, 24, 1
	v_cmp_eq_u64_e32 vcc_lo, 0, v[8:9]
	s_delay_alu instid0(VALU_DEP_2)
	v_lshrrev_b64 v[10:11], v14, v[10:11]
	v_cndmask_b32_e32 v8, v12, v13, vcc_lo
; %bb.18:
	s_and_not1_saveexec_b32 s0, s0
; %bb.19:
	s_delay_alu instid0(VALU_DEP_2)
	v_bfe_u32 v8, v10, 23, 1
; %bb.20:
	s_or_b32 exec_lo, exec_lo, s0
	s_delay_alu instid0(VALU_DEP_3) | instskip(NEXT) | instid1(VALU_DEP_2)
	v_lshrrev_b64 v[9:10], 20, v[10:11]
	v_cmp_gt_i32_e32 vcc_lo, 16, v8
	v_and_b32_e32 v0, 0x80, v0
	v_min_i32_e32 v11, 15, v8
	v_cmp_eq_u32_e64 s0, 0, v8
	v_dual_cndmask_b32 v9, 7, v9 :: v_dual_cndmask_b32 v10, 0, v10
	s_delay_alu instid0(VALU_DEP_3) | instskip(NEXT) | instid1(VALU_DEP_2)
	v_lshl_or_b32 v0, v11, 3, v0
	v_cmp_eq_u64_e32 vcc_lo, 0, v[9:10]
	s_delay_alu instid0(VALU_DEP_2)
	v_and_or_b32 v0, v9, 7, v0
	s_and_b32 s0, s0, vcc_lo
	s_delay_alu instid0(VALU_DEP_1) | instid1(SALU_CYCLE_1)
	v_cndmask_b32_e64 v8, v0, 0, s0
.LBB4_21:
	s_or_b32 exec_lo, exec_lo, s12
.LBB4_22:
	s_and_not1_saveexec_b32 s0, s5
	s_delay_alu instid0(SALU_CYCLE_1)
	s_or_b32 exec_lo, exec_lo, s0
.LBB4_23:
	s_and_not1_saveexec_b32 s0, s4
	s_delay_alu instid0(SALU_CYCLE_1) | instskip(SKIP_2) | instid1(VALU_DEP_1)
	s_or_b32 exec_lo, exec_lo, s0
	v_dual_mov_b32 v11, 0 :: v_dual_and_b32 v0, 0xffff, v1
	;;#ASMSTART
	v_cvt_f32_f16 v0, v0;
	;;#ASMEND
	v_mul_f32_e32 v0, v18, v0
	s_mov_b32 s0, 0x43600000
	s_delay_alu instid0(VALU_DEP_1) | instid1(SALU_CYCLE_1)
	v_minmax_f32 v12, v0, s0, 0xc3600000
	s_mov_b32 s0, exec_lo
	s_delay_alu instid0(VALU_DEP_1) | instskip(SKIP_1) | instid1(VALU_DEP_2)
	v_lshrrev_b32_e32 v0, 24, v12
	v_and_b32_e32 v10, 0x7f800000, v12
	v_or_b32_e32 v9, 0x7f, v0
	s_delay_alu instid0(VALU_DEP_2)
	v_cmpx_ne_u64_e32 0x7f800000, v[10:11]
	s_xor_b32 s4, exec_lo, s0
	s_cbranch_execz .LBB4_33
; %bb.24:
	v_and_b32_e32 v10, 0x7fffffff, v12
	s_mov_b32 s0, exec_lo
	s_delay_alu instid0(VALU_DEP_1)
	v_cmpx_gt_u64_e32 0x43700001, v[10:11]
	s_xor_b32 s5, exec_lo, s0
	s_cbranch_execz .LBB4_32
; %bb.25:
	s_mov_b32 s12, exec_lo
	v_mov_b32_e32 v9, 0
	v_mov_b32_e32 v10, 0
	v_cmpx_ne_u32_e32 0, v12
	s_cbranch_execz .LBB4_31
; %bb.26:
	v_bfe_u32 v21, v12, 23, 8
	v_dual_mov_b32 v10, 0 :: v_dual_and_b32 v11, 0x7fffff, v12
	s_delay_alu instid0(VALU_DEP_2) | instskip(SKIP_2) | instid1(VALU_DEP_3)
	v_sub_nc_u32_e64 v9, 0x78, v21 clamp
	v_cmp_eq_u32_e32 vcc_lo, 0, v21
	v_add_nc_u32_e32 v21, 0xffffff89, v21
	v_cndmask_b32_e64 v22, v9, 0x77, vcc_lo
	v_or_b32_e32 v9, 0x800000, v11
	s_delay_alu instid0(VALU_DEP_1) | instskip(SKIP_1) | instid1(VALU_DEP_2)
	v_dual_cndmask_b32 v9, v9, v11 :: v_dual_add_nc_u32 v12, 20, v22
	v_add_nc_u32_e32 v13, 19, v22
	v_lshlrev_b64 v[11:12], v12, -1
	v_mov_b32_e32 v12, v10
	s_delay_alu instid0(VALU_DEP_4) | instskip(NEXT) | instid1(VALU_DEP_4)
	v_lshrrev_b64 v[19:20], v22, v[9:10]
	v_lshlrev_b64 v[13:14], v13, 1
	s_delay_alu instid0(VALU_DEP_4) | instskip(NEXT) | instid1(VALU_DEP_1)
	v_not_b32_e32 v11, v11
	v_and_b32_e32 v11, v9, v11
	s_delay_alu instid0(VALU_DEP_4) | instskip(NEXT) | instid1(VALU_DEP_2)
	v_and_b32_e32 v9, 0x100000, v19
	v_cmp_eq_u64_e64 s0, v[11:12], v[13:14]
	s_delay_alu instid0(VALU_DEP_2) | instskip(SKIP_2) | instid1(VALU_DEP_3)
	v_cmp_eq_u64_e64 s1, 0, v[9:10]
	v_cndmask_b32_e64 v9, v21, 0xffffff8a, vcc_lo
	v_lshrrev_b32_e32 v11, 23, v19
	s_and_b32 vcc_lo, s1, s0
	s_delay_alu instid0(VALU_DEP_1) | instskip(SKIP_2) | instid1(VALU_DEP_2)
	v_add3_u32 v13, v9, v22, v11
	v_subrev_co_ci_u32_e32 v12, vcc_lo, 0, v19, vcc_lo
	s_mov_b32 s0, exec_lo
	v_add_nc_u32_e32 v14, -1, v13
	s_delay_alu instid0(VALU_DEP_2) | instskip(NEXT) | instid1(VALU_DEP_1)
	v_and_b32_e32 v9, 0xfffff, v12
	v_add_co_u32 v11, vcc_lo, v9, v19
	v_add_co_ci_u32_e32 v12, vcc_lo, 0, v20, vcc_lo
                                        ; implicit-def: $vgpr9
	s_delay_alu instid0(VALU_DEP_4)
	v_cmpx_ne_u32_e32 0, v14
	s_xor_b32 s0, exec_lo, s0
; %bb.27:
	s_delay_alu instid0(VALU_DEP_3) | instskip(SKIP_1) | instid1(VALU_DEP_2)
	v_and_b32_e32 v9, 0x1000000, v11
	v_bfe_u32 v19, v11, 24, 1
	v_cmp_eq_u64_e32 vcc_lo, 0, v[9:10]
	s_delay_alu instid0(VALU_DEP_2)
	v_lshrrev_b64 v[11:12], v19, v[11:12]
	v_cndmask_b32_e32 v9, v13, v14, vcc_lo
; %bb.28:
	s_and_not1_saveexec_b32 s0, s0
; %bb.29:
	s_delay_alu instid0(VALU_DEP_2)
	v_bfe_u32 v9, v11, 23, 1
; %bb.30:
	s_or_b32 exec_lo, exec_lo, s0
	s_delay_alu instid0(VALU_DEP_3) | instskip(NEXT) | instid1(VALU_DEP_2)
	v_lshrrev_b64 v[10:11], 20, v[11:12]
	v_cmp_gt_i32_e32 vcc_lo, 16, v9
	v_and_b32_e32 v0, 0x80, v0
	v_min_i32_e32 v12, 15, v9
	v_cmp_eq_u32_e64 s0, 0, v9
	v_dual_cndmask_b32 v11, 0, v11 :: v_dual_cndmask_b32 v10, 7, v10
	s_delay_alu instid0(VALU_DEP_3) | instskip(NEXT) | instid1(VALU_DEP_2)
	v_lshl_or_b32 v0, v12, 3, v0
	v_cmp_eq_u64_e32 vcc_lo, 0, v[10:11]
	s_delay_alu instid0(VALU_DEP_2)
	v_and_or_b32 v0, v10, 7, v0
	s_and_b32 s0, s0, vcc_lo
	s_delay_alu instid0(VALU_DEP_1) | instid1(SALU_CYCLE_1)
	v_cndmask_b32_e64 v9, v0, 0, s0
.LBB4_31:
	s_or_b32 exec_lo, exec_lo, s12
.LBB4_32:
	s_and_not1_saveexec_b32 s0, s5
	s_delay_alu instid0(SALU_CYCLE_1)
	s_or_b32 exec_lo, exec_lo, s0
.LBB4_33:
	s_and_not1_saveexec_b32 s0, s4
	s_delay_alu instid0(SALU_CYCLE_1) | instskip(SKIP_2) | instid1(VALU_DEP_1)
	s_or_b32 exec_lo, exec_lo, s0
	v_lshrrev_b32_e32 v0, 16, v1
	;;#ASMSTART
	v_cvt_f32_f16 v0, v0;
	;;#ASMEND
	v_dual_mul_f32 v0, v18, v0 :: v_dual_mov_b32 v11, 0
	s_mov_b32 s0, 0x43600000
	s_delay_alu instid0(VALU_DEP_1) | instid1(SALU_CYCLE_1)
	v_minmax_f32 v13, v0, s0, 0xc3600000
	s_mov_b32 s0, exec_lo
	s_delay_alu instid0(VALU_DEP_1) | instskip(SKIP_1) | instid1(VALU_DEP_2)
	v_lshrrev_b32_e32 v12, 24, v13
	v_and_b32_e32 v10, 0x7f800000, v13
	v_or_b32_e32 v0, 0x7f, v12
	s_delay_alu instid0(VALU_DEP_2)
	v_cmpx_ne_u64_e32 0x7f800000, v[10:11]
	s_xor_b32 s4, exec_lo, s0
	s_cbranch_execz .LBB4_43
; %bb.34:
	v_and_b32_e32 v10, 0x7fffffff, v13
	s_mov_b32 s0, exec_lo
	s_delay_alu instid0(VALU_DEP_1)
	v_cmpx_gt_u64_e32 0x43700001, v[10:11]
	s_xor_b32 s5, exec_lo, s0
	s_cbranch_execz .LBB4_42
; %bb.35:
	s_mov_b32 s12, exec_lo
	v_mov_b32_e32 v0, 0
	v_mov_b32_e32 v1, 0
	v_cmpx_ne_u32_e32 0, v13
	s_cbranch_execz .LBB4_41
; %bb.36:
	v_bfe_u32 v21, v13, 23, 8
	v_dual_mov_b32 v1, 0 :: v_dual_and_b32 v10, 0x7fffff, v13
	s_delay_alu instid0(VALU_DEP_2) | instskip(SKIP_2) | instid1(VALU_DEP_3)
	v_sub_nc_u32_e64 v0, 0x78, v21 clamp
	v_cmp_eq_u32_e32 vcc_lo, 0, v21
	v_add_nc_u32_e32 v21, 0xffffff89, v21
	v_cndmask_b32_e64 v22, v0, 0x77, vcc_lo
	v_or_b32_e32 v0, 0x800000, v10
	s_delay_alu instid0(VALU_DEP_2) | instskip(NEXT) | instid1(VALU_DEP_2)
	v_add_nc_u32_e32 v11, 20, v22
	v_cndmask_b32_e32 v0, v0, v10, vcc_lo
	v_add_nc_u32_e32 v13, 19, v22
	s_delay_alu instid0(VALU_DEP_3) | instskip(SKIP_1) | instid1(VALU_DEP_4)
	v_lshlrev_b64 v[10:11], v11, -1
	v_mov_b32_e32 v11, v1
	v_lshrrev_b64 v[19:20], v22, v[0:1]
	s_delay_alu instid0(VALU_DEP_4) | instskip(NEXT) | instid1(VALU_DEP_4)
	v_lshlrev_b64 v[13:14], v13, 1
	v_not_b32_e32 v10, v10
	s_delay_alu instid0(VALU_DEP_1) | instskip(NEXT) | instid1(VALU_DEP_4)
	v_and_b32_e32 v10, v0, v10
	v_and_b32_e32 v0, 0x100000, v19
	s_delay_alu instid0(VALU_DEP_2) | instskip(NEXT) | instid1(VALU_DEP_2)
	v_cmp_eq_u64_e64 s0, v[10:11], v[13:14]
	v_cmp_eq_u64_e64 s1, 0, v[0:1]
	v_cndmask_b32_e64 v0, v21, 0xffffff8a, vcc_lo
	v_lshrrev_b32_e32 v10, 23, v19
	s_delay_alu instid0(VALU_DEP_3) | instskip(NEXT) | instid1(VALU_DEP_1)
	s_and_b32 vcc_lo, s1, s0
	v_add3_u32 v13, v0, v22, v10
	v_subrev_co_ci_u32_e32 v11, vcc_lo, 0, v19, vcc_lo
	s_mov_b32 s0, exec_lo
	s_delay_alu instid0(VALU_DEP_2) | instskip(NEXT) | instid1(VALU_DEP_2)
	v_add_nc_u32_e32 v14, -1, v13
	v_and_b32_e32 v0, 0xfffff, v11
	s_delay_alu instid0(VALU_DEP_1) | instskip(SKIP_1) | instid1(VALU_DEP_4)
	v_add_co_u32 v10, vcc_lo, v0, v19
	v_add_co_ci_u32_e32 v11, vcc_lo, 0, v20, vcc_lo
                                        ; implicit-def: $vgpr0
	v_cmpx_ne_u32_e32 0, v14
	s_xor_b32 s0, exec_lo, s0
; %bb.37:
	s_delay_alu instid0(VALU_DEP_3) | instskip(SKIP_1) | instid1(VALU_DEP_2)
	v_and_b32_e32 v0, 0x1000000, v10
	v_bfe_u32 v19, v10, 24, 1
	v_cmp_eq_u64_e32 vcc_lo, 0, v[0:1]
	s_delay_alu instid0(VALU_DEP_2)
	v_lshrrev_b64 v[10:11], v19, v[10:11]
	v_cndmask_b32_e32 v0, v13, v14, vcc_lo
; %bb.38:
	s_and_not1_saveexec_b32 s0, s0
; %bb.39:
	s_delay_alu instid0(VALU_DEP_2)
	v_bfe_u32 v0, v10, 23, 1
; %bb.40:
	s_or_b32 exec_lo, exec_lo, s0
	s_delay_alu instid0(VALU_DEP_3) | instskip(NEXT) | instid1(VALU_DEP_2)
	v_lshrrev_b64 v[10:11], 20, v[10:11]
	v_cmp_gt_i32_e32 vcc_lo, 16, v0
	v_and_b32_e32 v1, 0x80, v12
	v_min_i32_e32 v12, 15, v0
	v_cmp_eq_u32_e64 s0, 0, v0
	v_dual_cndmask_b32 v10, 7, v10 :: v_dual_cndmask_b32 v11, 0, v11
	s_delay_alu instid0(VALU_DEP_3) | instskip(NEXT) | instid1(VALU_DEP_2)
	v_lshl_or_b32 v1, v12, 3, v1
	v_cmp_eq_u64_e32 vcc_lo, 0, v[10:11]
	s_delay_alu instid0(VALU_DEP_2)
	v_and_or_b32 v0, v10, 7, v1
	s_and_b32 s0, s0, vcc_lo
	s_delay_alu instid0(VALU_DEP_1) | instid1(SALU_CYCLE_1)
	v_cndmask_b32_e64 v0, v0, 0, s0
.LBB4_41:
	s_or_b32 exec_lo, exec_lo, s12
.LBB4_42:
	s_and_not1_saveexec_b32 s0, s5
	s_delay_alu instid0(SALU_CYCLE_1)
	s_or_b32 exec_lo, exec_lo, s0
.LBB4_43:
	s_and_not1_saveexec_b32 s0, s4
	s_delay_alu instid0(SALU_CYCLE_1) | instskip(SKIP_2) | instid1(VALU_DEP_1)
	s_or_b32 exec_lo, exec_lo, s0
	v_dual_mov_b32 v12, 0 :: v_dual_and_b32 v1, 0xffff, v2
	;;#ASMSTART
	v_cvt_f32_f16 v1, v1;
	;;#ASMEND
	v_mul_f32_e32 v1, v18, v1
	s_mov_b32 s0, 0x43600000
	s_delay_alu instid0(VALU_DEP_1) | instid1(SALU_CYCLE_1)
	v_minmax_f32 v13, v1, s0, 0xc3600000
	s_mov_b32 s0, exec_lo
	s_delay_alu instid0(VALU_DEP_1) | instskip(SKIP_1) | instid1(VALU_DEP_2)
	v_lshrrev_b32_e32 v1, 24, v13
	v_and_b32_e32 v11, 0x7f800000, v13
	v_or_b32_e32 v10, 0x7f, v1
	s_delay_alu instid0(VALU_DEP_2)
	v_cmpx_ne_u64_e32 0x7f800000, v[11:12]
	s_xor_b32 s4, exec_lo, s0
	s_cbranch_execz .LBB4_53
; %bb.44:
	v_and_b32_e32 v11, 0x7fffffff, v13
	s_mov_b32 s0, exec_lo
	s_delay_alu instid0(VALU_DEP_1)
	v_cmpx_gt_u64_e32 0x43700001, v[11:12]
	s_xor_b32 s5, exec_lo, s0
	s_cbranch_execz .LBB4_52
; %bb.45:
	s_mov_b32 s12, exec_lo
	v_mov_b32_e32 v10, 0
	v_mov_b32_e32 v11, 0
	v_cmpx_ne_u32_e32 0, v13
	s_cbranch_execz .LBB4_51
; %bb.46:
	v_bfe_u32 v14, v13, 23, 8
	v_dual_mov_b32 v11, 0 :: v_dual_and_b32 v12, 0x7fffff, v13
	s_delay_alu instid0(VALU_DEP_2) | instskip(SKIP_2) | instid1(VALU_DEP_3)
	v_sub_nc_u32_e64 v10, 0x78, v14 clamp
	v_cmp_eq_u32_e32 vcc_lo, 0, v14
	v_add_nc_u32_e32 v14, 0xffffff89, v14
	v_cndmask_b32_e64 v19, v10, 0x77, vcc_lo
	v_or_b32_e32 v10, 0x800000, v12
	s_delay_alu instid0(VALU_DEP_1) | instskip(SKIP_1) | instid1(VALU_DEP_2)
	v_dual_cndmask_b32 v10, v10, v12 :: v_dual_add_nc_u32 v13, 20, v19
	v_add_nc_u32_e32 v22, 19, v19
	v_lshlrev_b64 v[12:13], v13, -1
	v_mov_b32_e32 v13, v11
	s_delay_alu instid0(VALU_DEP_4) | instskip(NEXT) | instid1(VALU_DEP_4)
	v_lshrrev_b64 v[20:21], v19, v[10:11]
	v_lshlrev_b64 v[22:23], v22, 1
	s_delay_alu instid0(VALU_DEP_4) | instskip(NEXT) | instid1(VALU_DEP_1)
	v_not_b32_e32 v12, v12
	v_and_b32_e32 v12, v10, v12
	s_delay_alu instid0(VALU_DEP_4) | instskip(NEXT) | instid1(VALU_DEP_2)
	v_and_b32_e32 v10, 0x100000, v20
	v_cmp_eq_u64_e64 s0, v[12:13], v[22:23]
	s_delay_alu instid0(VALU_DEP_2) | instskip(SKIP_2) | instid1(VALU_DEP_3)
	v_cmp_eq_u64_e64 s1, 0, v[10:11]
	v_cndmask_b32_e64 v10, v14, 0xffffff8a, vcc_lo
	v_lshrrev_b32_e32 v12, 23, v20
	s_and_b32 vcc_lo, s1, s0
	s_delay_alu instid0(VALU_DEP_1) | instskip(SKIP_2) | instid1(VALU_DEP_2)
	v_add3_u32 v14, v10, v19, v12
	v_subrev_co_ci_u32_e32 v13, vcc_lo, 0, v20, vcc_lo
	s_mov_b32 s0, exec_lo
	v_add_nc_u32_e32 v19, -1, v14
	s_delay_alu instid0(VALU_DEP_2) | instskip(NEXT) | instid1(VALU_DEP_1)
	v_and_b32_e32 v10, 0xfffff, v13
	v_add_co_u32 v12, vcc_lo, v10, v20
	v_add_co_ci_u32_e32 v13, vcc_lo, 0, v21, vcc_lo
                                        ; implicit-def: $vgpr10
	s_delay_alu instid0(VALU_DEP_4)
	v_cmpx_ne_u32_e32 0, v19
	s_xor_b32 s0, exec_lo, s0
; %bb.47:
	s_delay_alu instid0(VALU_DEP_3) | instskip(SKIP_1) | instid1(VALU_DEP_2)
	v_and_b32_e32 v10, 0x1000000, v12
	v_bfe_u32 v20, v12, 24, 1
	v_cmp_eq_u64_e32 vcc_lo, 0, v[10:11]
	s_delay_alu instid0(VALU_DEP_2)
	v_lshrrev_b64 v[12:13], v20, v[12:13]
	v_cndmask_b32_e32 v10, v14, v19, vcc_lo
; %bb.48:
	s_and_not1_saveexec_b32 s0, s0
; %bb.49:
	s_delay_alu instid0(VALU_DEP_2)
	v_bfe_u32 v10, v12, 23, 1
; %bb.50:
	s_or_b32 exec_lo, exec_lo, s0
	s_delay_alu instid0(VALU_DEP_3) | instskip(NEXT) | instid1(VALU_DEP_2)
	v_lshrrev_b64 v[11:12], 20, v[12:13]
	v_cmp_gt_i32_e32 vcc_lo, 16, v10
	v_and_b32_e32 v1, 0x80, v1
	v_min_i32_e32 v13, 15, v10
	v_cmp_eq_u32_e64 s0, 0, v10
	v_dual_cndmask_b32 v12, 0, v12 :: v_dual_cndmask_b32 v11, 7, v11
	s_delay_alu instid0(VALU_DEP_3) | instskip(NEXT) | instid1(VALU_DEP_2)
	v_lshl_or_b32 v1, v13, 3, v1
	v_cmp_eq_u64_e32 vcc_lo, 0, v[11:12]
	s_delay_alu instid0(VALU_DEP_2)
	v_and_or_b32 v1, v11, 7, v1
	s_and_b32 s0, s0, vcc_lo
	s_delay_alu instid0(VALU_DEP_1) | instid1(SALU_CYCLE_1)
	v_cndmask_b32_e64 v10, v1, 0, s0
.LBB4_51:
	s_or_b32 exec_lo, exec_lo, s12
.LBB4_52:
	s_and_not1_saveexec_b32 s0, s5
	s_delay_alu instid0(SALU_CYCLE_1)
	s_or_b32 exec_lo, exec_lo, s0
.LBB4_53:
	s_and_not1_saveexec_b32 s0, s4
	s_delay_alu instid0(SALU_CYCLE_1) | instskip(SKIP_2) | instid1(VALU_DEP_1)
	s_or_b32 exec_lo, exec_lo, s0
	v_lshrrev_b32_e32 v1, 16, v2
	;;#ASMSTART
	v_cvt_f32_f16 v1, v1;
	;;#ASMEND
	v_dual_mul_f32 v1, v18, v1 :: v_dual_mov_b32 v12, 0
	s_mov_b32 s0, 0x43600000
	s_delay_alu instid0(VALU_DEP_1) | instid1(SALU_CYCLE_1)
	v_minmax_f32 v14, v1, s0, 0xc3600000
	s_mov_b32 s0, exec_lo
	s_delay_alu instid0(VALU_DEP_1) | instskip(SKIP_1) | instid1(VALU_DEP_2)
	v_lshrrev_b32_e32 v13, 24, v14
	v_and_b32_e32 v11, 0x7f800000, v14
	v_or_b32_e32 v1, 0x7f, v13
	s_delay_alu instid0(VALU_DEP_2)
	v_cmpx_ne_u64_e32 0x7f800000, v[11:12]
	s_xor_b32 s4, exec_lo, s0
	s_cbranch_execz .LBB4_63
; %bb.54:
	v_and_b32_e32 v11, 0x7fffffff, v14
	s_mov_b32 s0, exec_lo
	s_delay_alu instid0(VALU_DEP_1)
	v_cmpx_gt_u64_e32 0x43700001, v[11:12]
	s_xor_b32 s5, exec_lo, s0
	s_cbranch_execz .LBB4_62
; %bb.55:
	s_mov_b32 s12, exec_lo
	v_mov_b32_e32 v1, 0
	v_mov_b32_e32 v2, 0
	v_cmpx_ne_u32_e32 0, v14
	s_cbranch_execz .LBB4_61
; %bb.56:
	v_bfe_u32 v19, v14, 23, 8
	v_dual_mov_b32 v2, 0 :: v_dual_and_b32 v11, 0x7fffff, v14
	s_delay_alu instid0(VALU_DEP_2) | instskip(SKIP_2) | instid1(VALU_DEP_3)
	v_sub_nc_u32_e64 v1, 0x78, v19 clamp
	v_cmp_eq_u32_e32 vcc_lo, 0, v19
	v_add_nc_u32_e32 v19, 0xffffff89, v19
	v_cndmask_b32_e64 v14, v1, 0x77, vcc_lo
	v_or_b32_e32 v1, 0x800000, v11
	s_delay_alu instid0(VALU_DEP_1) | instskip(SKIP_1) | instid1(VALU_DEP_2)
	v_dual_cndmask_b32 v1, v1, v11 :: v_dual_add_nc_u32 v12, 20, v14
	v_add_nc_u32_e32 v22, 19, v14
	v_lshlrev_b64 v[11:12], v12, -1
	s_delay_alu instid0(VALU_DEP_3) | instskip(NEXT) | instid1(VALU_DEP_3)
	v_lshrrev_b64 v[20:21], v14, v[1:2]
	v_lshlrev_b64 v[22:23], v22, 1
	s_delay_alu instid0(VALU_DEP_3) | instskip(NEXT) | instid1(VALU_DEP_1)
	v_not_b32_e32 v11, v11
	v_dual_mov_b32 v12, v2 :: v_dual_and_b32 v11, v1, v11
	s_delay_alu instid0(VALU_DEP_4) | instskip(NEXT) | instid1(VALU_DEP_2)
	v_and_b32_e32 v1, 0x100000, v20
	v_cmp_eq_u64_e64 s0, v[11:12], v[22:23]
	s_delay_alu instid0(VALU_DEP_2) | instskip(SKIP_2) | instid1(VALU_DEP_3)
	v_cmp_eq_u64_e64 s1, 0, v[1:2]
	v_cndmask_b32_e64 v1, v19, 0xffffff8a, vcc_lo
	v_lshrrev_b32_e32 v11, 23, v20
	s_and_b32 vcc_lo, s1, s0
	s_delay_alu instid0(VALU_DEP_1) | instskip(SKIP_2) | instid1(VALU_DEP_2)
	v_add3_u32 v14, v1, v14, v11
	v_subrev_co_ci_u32_e32 v12, vcc_lo, 0, v20, vcc_lo
	s_mov_b32 s0, exec_lo
	v_add_nc_u32_e32 v19, -1, v14
	s_delay_alu instid0(VALU_DEP_2) | instskip(NEXT) | instid1(VALU_DEP_1)
	v_and_b32_e32 v1, 0xfffff, v12
	v_add_co_u32 v11, vcc_lo, v1, v20
	v_add_co_ci_u32_e32 v12, vcc_lo, 0, v21, vcc_lo
                                        ; implicit-def: $vgpr1
	s_delay_alu instid0(VALU_DEP_4)
	v_cmpx_ne_u32_e32 0, v19
	s_xor_b32 s0, exec_lo, s0
; %bb.57:
	s_delay_alu instid0(VALU_DEP_3) | instskip(SKIP_1) | instid1(VALU_DEP_2)
	v_and_b32_e32 v1, 0x1000000, v11
	v_bfe_u32 v20, v11, 24, 1
	v_cmp_eq_u64_e32 vcc_lo, 0, v[1:2]
	s_delay_alu instid0(VALU_DEP_2)
	v_lshrrev_b64 v[11:12], v20, v[11:12]
	v_cndmask_b32_e32 v1, v14, v19, vcc_lo
; %bb.58:
	s_and_not1_saveexec_b32 s0, s0
; %bb.59:
	s_delay_alu instid0(VALU_DEP_2)
	v_bfe_u32 v1, v11, 23, 1
; %bb.60:
	s_or_b32 exec_lo, exec_lo, s0
	s_delay_alu instid0(VALU_DEP_3) | instskip(NEXT) | instid1(VALU_DEP_2)
	v_lshrrev_b64 v[11:12], 20, v[11:12]
	v_cmp_gt_i32_e32 vcc_lo, 16, v1
	v_and_b32_e32 v2, 0x80, v13
	v_min_i32_e32 v13, 15, v1
	v_cmp_eq_u32_e64 s0, 0, v1
	v_dual_cndmask_b32 v11, 7, v11 :: v_dual_cndmask_b32 v12, 0, v12
	s_delay_alu instid0(VALU_DEP_3) | instskip(NEXT) | instid1(VALU_DEP_2)
	v_lshl_or_b32 v2, v13, 3, v2
	v_cmp_eq_u64_e32 vcc_lo, 0, v[11:12]
	s_delay_alu instid0(VALU_DEP_2)
	v_and_or_b32 v1, v11, 7, v2
	s_and_b32 s0, s0, vcc_lo
	s_delay_alu instid0(VALU_DEP_1) | instid1(SALU_CYCLE_1)
	v_cndmask_b32_e64 v1, v1, 0, s0
.LBB4_61:
	s_or_b32 exec_lo, exec_lo, s12
.LBB4_62:
	s_and_not1_saveexec_b32 s0, s5
	s_delay_alu instid0(SALU_CYCLE_1)
	s_or_b32 exec_lo, exec_lo, s0
.LBB4_63:
	s_and_not1_saveexec_b32 s0, s4
	s_delay_alu instid0(SALU_CYCLE_1) | instskip(SKIP_2) | instid1(VALU_DEP_1)
	s_or_b32 exec_lo, exec_lo, s0
	v_dual_mov_b32 v13, 0 :: v_dual_and_b32 v2, 0xffff, v3
	;;#ASMSTART
	v_cvt_f32_f16 v2, v2;
	;;#ASMEND
	v_mul_f32_e32 v2, v18, v2
	s_mov_b32 s0, 0x43600000
	s_delay_alu instid0(VALU_DEP_1) | instid1(SALU_CYCLE_1)
	v_minmax_f32 v14, v2, s0, 0xc3600000
	s_mov_b32 s0, exec_lo
	s_delay_alu instid0(VALU_DEP_1) | instskip(SKIP_1) | instid1(VALU_DEP_2)
	v_lshrrev_b32_e32 v2, 24, v14
	v_and_b32_e32 v12, 0x7f800000, v14
	v_or_b32_e32 v11, 0x7f, v2
	s_delay_alu instid0(VALU_DEP_2)
	v_cmpx_ne_u64_e32 0x7f800000, v[12:13]
	s_xor_b32 s4, exec_lo, s0
	s_cbranch_execz .LBB4_73
; %bb.64:
	v_and_b32_e32 v12, 0x7fffffff, v14
	s_mov_b32 s0, exec_lo
	s_delay_alu instid0(VALU_DEP_1)
	v_cmpx_gt_u64_e32 0x43700001, v[12:13]
	s_xor_b32 s5, exec_lo, s0
	s_cbranch_execz .LBB4_72
; %bb.65:
	s_mov_b32 s12, exec_lo
	v_mov_b32_e32 v11, 0
	v_mov_b32_e32 v12, 0
	v_cmpx_ne_u32_e32 0, v14
	s_cbranch_execz .LBB4_71
; %bb.66:
	v_bfe_u32 v23, v14, 23, 8
	v_dual_mov_b32 v12, 0 :: v_dual_and_b32 v13, 0x7fffff, v14
	s_delay_alu instid0(VALU_DEP_2) | instskip(SKIP_2) | instid1(VALU_DEP_3)
	v_sub_nc_u32_e64 v11, 0x78, v23 clamp
	v_cmp_eq_u32_e32 vcc_lo, 0, v23
	v_add_nc_u32_e32 v23, 0xffffff89, v23
	v_cndmask_b32_e64 v24, v11, 0x77, vcc_lo
	v_or_b32_e32 v11, 0x800000, v13
	s_delay_alu instid0(VALU_DEP_1) | instskip(SKIP_1) | instid1(VALU_DEP_2)
	v_dual_cndmask_b32 v11, v11, v13 :: v_dual_add_nc_u32 v14, 20, v24
	v_add_nc_u32_e32 v19, 19, v24
	v_lshlrev_b64 v[13:14], v14, -1
	v_mov_b32_e32 v14, v12
	s_delay_alu instid0(VALU_DEP_4) | instskip(NEXT) | instid1(VALU_DEP_4)
	v_lshrrev_b64 v[21:22], v24, v[11:12]
	v_lshlrev_b64 v[19:20], v19, 1
	s_delay_alu instid0(VALU_DEP_4) | instskip(NEXT) | instid1(VALU_DEP_1)
	v_not_b32_e32 v13, v13
	v_and_b32_e32 v13, v11, v13
	s_delay_alu instid0(VALU_DEP_4) | instskip(NEXT) | instid1(VALU_DEP_2)
	v_and_b32_e32 v11, 0x100000, v21
	v_cmp_eq_u64_e64 s0, v[13:14], v[19:20]
	s_delay_alu instid0(VALU_DEP_2) | instskip(SKIP_2) | instid1(VALU_DEP_3)
	v_cmp_eq_u64_e64 s1, 0, v[11:12]
	v_cndmask_b32_e64 v11, v23, 0xffffff8a, vcc_lo
	v_lshrrev_b32_e32 v13, 23, v21
	s_and_b32 vcc_lo, s1, s0
	s_delay_alu instid0(VALU_DEP_1) | instskip(SKIP_2) | instid1(VALU_DEP_2)
	v_add3_u32 v19, v11, v24, v13
	v_subrev_co_ci_u32_e32 v14, vcc_lo, 0, v21, vcc_lo
	s_mov_b32 s0, exec_lo
	v_add_nc_u32_e32 v20, -1, v19
	s_delay_alu instid0(VALU_DEP_2) | instskip(NEXT) | instid1(VALU_DEP_1)
	v_and_b32_e32 v11, 0xfffff, v14
	v_add_co_u32 v13, vcc_lo, v11, v21
	v_add_co_ci_u32_e32 v14, vcc_lo, 0, v22, vcc_lo
                                        ; implicit-def: $vgpr11
	s_delay_alu instid0(VALU_DEP_4)
	v_cmpx_ne_u32_e32 0, v20
	s_xor_b32 s0, exec_lo, s0
; %bb.67:
	s_delay_alu instid0(VALU_DEP_3) | instskip(SKIP_1) | instid1(VALU_DEP_2)
	v_and_b32_e32 v11, 0x1000000, v13
	v_bfe_u32 v21, v13, 24, 1
	v_cmp_eq_u64_e32 vcc_lo, 0, v[11:12]
	s_delay_alu instid0(VALU_DEP_2)
	v_lshrrev_b64 v[13:14], v21, v[13:14]
	v_cndmask_b32_e32 v11, v19, v20, vcc_lo
; %bb.68:
	s_and_not1_saveexec_b32 s0, s0
; %bb.69:
	s_delay_alu instid0(VALU_DEP_2)
	v_bfe_u32 v11, v13, 23, 1
; %bb.70:
	s_or_b32 exec_lo, exec_lo, s0
	s_delay_alu instid0(VALU_DEP_3) | instskip(NEXT) | instid1(VALU_DEP_2)
	v_lshrrev_b64 v[12:13], 20, v[13:14]
	v_cmp_gt_i32_e32 vcc_lo, 16, v11
	v_and_b32_e32 v2, 0x80, v2
	v_min_i32_e32 v14, 15, v11
	v_cmp_eq_u32_e64 s0, 0, v11
	v_dual_cndmask_b32 v13, 0, v13 :: v_dual_cndmask_b32 v12, 7, v12
	s_delay_alu instid0(VALU_DEP_3) | instskip(NEXT) | instid1(VALU_DEP_2)
	v_lshl_or_b32 v2, v14, 3, v2
	v_cmp_eq_u64_e32 vcc_lo, 0, v[12:13]
	s_delay_alu instid0(VALU_DEP_2)
	v_and_or_b32 v2, v12, 7, v2
	s_and_b32 s0, s0, vcc_lo
	s_delay_alu instid0(VALU_DEP_1) | instid1(SALU_CYCLE_1)
	v_cndmask_b32_e64 v11, v2, 0, s0
.LBB4_71:
	s_or_b32 exec_lo, exec_lo, s12
.LBB4_72:
	s_and_not1_saveexec_b32 s0, s5
	s_delay_alu instid0(SALU_CYCLE_1)
	s_or_b32 exec_lo, exec_lo, s0
.LBB4_73:
	s_and_not1_saveexec_b32 s0, s4
	s_delay_alu instid0(SALU_CYCLE_1) | instskip(SKIP_2) | instid1(VALU_DEP_1)
	s_or_b32 exec_lo, exec_lo, s0
	v_lshrrev_b32_e32 v2, 16, v3
	;;#ASMSTART
	v_cvt_f32_f16 v2, v2;
	;;#ASMEND
	v_dual_mul_f32 v2, v18, v2 :: v_dual_mov_b32 v13, 0
	s_mov_b32 s0, 0x43600000
	s_delay_alu instid0(VALU_DEP_1) | instid1(SALU_CYCLE_1)
	v_minmax_f32 v18, v2, s0, 0xc3600000
	s_mov_b32 s0, exec_lo
	s_delay_alu instid0(VALU_DEP_1) | instskip(SKIP_1) | instid1(VALU_DEP_2)
	v_lshrrev_b32_e32 v14, 24, v18
	v_and_b32_e32 v12, 0x7f800000, v18
	v_or_b32_e32 v2, 0x7f, v14
	s_delay_alu instid0(VALU_DEP_2)
	v_cmpx_ne_u64_e32 0x7f800000, v[12:13]
	s_xor_b32 s4, exec_lo, s0
	s_cbranch_execz .LBB4_83
; %bb.74:
	v_and_b32_e32 v12, 0x7fffffff, v18
	s_mov_b32 s0, exec_lo
	s_delay_alu instid0(VALU_DEP_1)
	v_cmpx_gt_u64_e32 0x43700001, v[12:13]
	s_xor_b32 s5, exec_lo, s0
	s_cbranch_execz .LBB4_82
; %bb.75:
	s_mov_b32 s12, exec_lo
	v_mov_b32_e32 v2, 0
	v_mov_b32_e32 v3, 0
	v_cmpx_ne_u32_e32 0, v18
	s_cbranch_execz .LBB4_81
; %bb.76:
	v_bfe_u32 v22, v18, 23, 8
	v_dual_mov_b32 v3, 0 :: v_dual_and_b32 v12, 0x7fffff, v18
	s_delay_alu instid0(VALU_DEP_2) | instskip(SKIP_2) | instid1(VALU_DEP_3)
	v_sub_nc_u32_e64 v2, 0x78, v22 clamp
	v_cmp_eq_u32_e32 vcc_lo, 0, v22
	v_add_nc_u32_e32 v22, 0xffffff89, v22
	v_cndmask_b32_e64 v23, v2, 0x77, vcc_lo
	v_or_b32_e32 v2, 0x800000, v12
	s_delay_alu instid0(VALU_DEP_1) | instskip(SKIP_1) | instid1(VALU_DEP_2)
	v_dual_cndmask_b32 v2, v2, v12 :: v_dual_add_nc_u32 v13, 20, v23
	v_add_nc_u32_e32 v18, 19, v23
	v_lshlrev_b64 v[12:13], v13, -1
	v_mov_b32_e32 v13, v3
	s_delay_alu instid0(VALU_DEP_4) | instskip(NEXT) | instid1(VALU_DEP_4)
	v_lshrrev_b64 v[20:21], v23, v[2:3]
	v_lshlrev_b64 v[18:19], v18, 1
	s_delay_alu instid0(VALU_DEP_4) | instskip(NEXT) | instid1(VALU_DEP_1)
	v_not_b32_e32 v12, v12
	v_and_b32_e32 v12, v2, v12
	s_delay_alu instid0(VALU_DEP_4) | instskip(NEXT) | instid1(VALU_DEP_2)
	v_and_b32_e32 v2, 0x100000, v20
	v_cmp_eq_u64_e64 s0, v[12:13], v[18:19]
	s_delay_alu instid0(VALU_DEP_2) | instskip(SKIP_2) | instid1(VALU_DEP_3)
	v_cmp_eq_u64_e64 s1, 0, v[2:3]
	v_cndmask_b32_e64 v2, v22, 0xffffff8a, vcc_lo
	v_lshrrev_b32_e32 v12, 23, v20
	s_and_b32 vcc_lo, s1, s0
	s_delay_alu instid0(VALU_DEP_1) | instskip(SKIP_2) | instid1(VALU_DEP_2)
	v_add3_u32 v18, v2, v23, v12
	v_subrev_co_ci_u32_e32 v13, vcc_lo, 0, v20, vcc_lo
	s_mov_b32 s0, exec_lo
	v_add_nc_u32_e32 v19, -1, v18
	s_delay_alu instid0(VALU_DEP_2) | instskip(NEXT) | instid1(VALU_DEP_1)
	v_and_b32_e32 v2, 0xfffff, v13
	v_add_co_u32 v12, vcc_lo, v2, v20
	v_add_co_ci_u32_e32 v13, vcc_lo, 0, v21, vcc_lo
                                        ; implicit-def: $vgpr2
	s_delay_alu instid0(VALU_DEP_4)
	v_cmpx_ne_u32_e32 0, v19
	s_xor_b32 s0, exec_lo, s0
; %bb.77:
	s_delay_alu instid0(VALU_DEP_3) | instskip(SKIP_1) | instid1(VALU_DEP_2)
	v_and_b32_e32 v2, 0x1000000, v12
	v_bfe_u32 v20, v12, 24, 1
	v_cmp_eq_u64_e32 vcc_lo, 0, v[2:3]
	s_delay_alu instid0(VALU_DEP_2)
	v_lshrrev_b64 v[12:13], v20, v[12:13]
	v_cndmask_b32_e32 v2, v18, v19, vcc_lo
; %bb.78:
	s_and_not1_saveexec_b32 s0, s0
; %bb.79:
	s_delay_alu instid0(VALU_DEP_2)
	v_bfe_u32 v2, v12, 23, 1
; %bb.80:
	s_or_b32 exec_lo, exec_lo, s0
	s_delay_alu instid0(VALU_DEP_3) | instskip(NEXT) | instid1(VALU_DEP_2)
	v_lshrrev_b64 v[12:13], 20, v[12:13]
	v_cmp_gt_i32_e32 vcc_lo, 16, v2
	v_and_b32_e32 v3, 0x80, v14
	v_min_i32_e32 v14, 15, v2
	v_cmp_eq_u32_e64 s0, 0, v2
	v_dual_cndmask_b32 v12, 7, v12 :: v_dual_cndmask_b32 v13, 0, v13
	s_delay_alu instid0(VALU_DEP_3) | instskip(NEXT) | instid1(VALU_DEP_2)
	v_lshl_or_b32 v3, v14, 3, v3
	v_cmp_eq_u64_e32 vcc_lo, 0, v[12:13]
	s_delay_alu instid0(VALU_DEP_2)
	v_and_or_b32 v2, v12, 7, v3
	s_and_b32 s0, s0, vcc_lo
	s_delay_alu instid0(VALU_DEP_1) | instid1(SALU_CYCLE_1)
	v_cndmask_b32_e64 v2, v2, 0, s0
.LBB4_81:
	s_or_b32 exec_lo, exec_lo, s12
.LBB4_82:
	s_and_not1_saveexec_b32 s0, s5
	s_delay_alu instid0(SALU_CYCLE_1)
	s_or_b32 exec_lo, exec_lo, s0
.LBB4_83:
	s_and_not1_saveexec_b32 s0, s4
	s_delay_alu instid0(SALU_CYCLE_1)
	s_or_b32 exec_lo, exec_lo, s0
	v_lshlrev_b32_e32 v3, 16, v11
	v_lshlrev_b64 v[11:12], 3, v[4:5]
	v_lshlrev_b32_e32 v5, 16, v9
	v_lshlrev_b32_e32 v2, 24, v2
	;; [unrolled: 1-line block ×3, first 2 shown]
	v_and_b32_e32 v3, 0xff0000, v3
	v_lshlrev_b32_e32 v8, 8, v8
	v_perm_b32 v0, v0, v5, 0x4020c0c
	v_and_b32_e32 v5, 0xff, v10
	v_and_b32_e32 v9, 0xff00, v1
	v_or_b32_e32 v2, v2, v3
	v_and_b32_e32 v7, 0xff, v7
	v_and_or_b32 v8, 0xff00, v8, v0
	v_add_co_u32 v0, vcc_lo, v16, v11
	v_add_co_ci_u32_e32 v1, vcc_lo, v17, v12, vcc_lo
	v_or3_b32 v3, v2, v9, v5
	s_delay_alu instid0(VALU_DEP_4)
	v_or_b32_e32 v2, v8, v7
	global_store_b64 v[0:1], v[2:3], off
.LBB4_84:
	s_or_b32 exec_lo, exec_lo, s3
	v_cmp_eq_u32_e32 vcc_lo, 0, v4
	s_cmp_lg_u64 s[6:7], 0
	s_cselect_b32 s0, -1, 0
	s_delay_alu instid0(SALU_CYCLE_1) | instskip(NEXT) | instid1(SALU_CYCLE_1)
	s_and_b32 s1, s0, vcc_lo
	s_and_saveexec_b32 s0, s1
	s_cbranch_execz .LBB4_86
; %bb.85:
	v_mad_u64_u32 v[0:1], null, v15, s16, v[6:7]
	v_mov_b32_e32 v1, 0
	s_delay_alu instid0(VALU_DEP_1) | instskip(NEXT) | instid1(VALU_DEP_1)
	v_lshlrev_b64 v[0:1], 2, v[0:1]
	v_add_co_u32 v2, vcc_lo, s14, v0
	s_delay_alu instid0(VALU_DEP_2)
	v_add_co_ci_u32_e32 v3, vcc_lo, s15, v1, vcc_lo
	v_add_co_u32 v0, vcc_lo, s6, v0
	v_add_co_ci_u32_e32 v1, vcc_lo, s7, v1, vcc_lo
	global_load_b32 v2, v[2:3], off
	s_waitcnt vmcnt(0)
	global_store_b32 v[0:1], v2, off
.LBB4_86:
	s_or_b32 exec_lo, exec_lo, s0
                                        ; implicit-def: $vgpr4
                                        ; implicit-def: $vgpr6
                                        ; implicit-def: $vgpr15
                                        ; implicit-def: $vgpr5
                                        ; implicit-def: $vgpr0_vgpr1
                                        ; implicit-def: $vgpr18
                                        ; implicit-def: $vgpr2
                                        ; implicit-def: $vgpr3
                                        ; implicit-def: $vgpr16
                                        ; implicit-def: $vgpr17
.LBB4_87:
	s_and_not1_saveexec_b32 s0, s2
	s_cbranch_execz .LBB4_259
; %bb.88:
	v_mad_u64_u32 v[7:8], null, v15, s16, v[6:7]
	v_mov_b32_e32 v8, 0
	s_mov_b32 s1, exec_lo
	s_delay_alu instid0(VALU_DEP_1) | instskip(NEXT) | instid1(VALU_DEP_1)
	v_lshlrev_b64 v[6:7], 2, v[7:8]
	v_add_co_u32 v8, vcc_lo, s10, v6
	s_delay_alu instid0(VALU_DEP_2)
	v_add_co_ci_u32_e32 v9, vcc_lo, s11, v7, vcc_lo
	v_add_co_u32 v10, vcc_lo, s14, v6
	v_add_co_ci_u32_e32 v11, vcc_lo, s15, v7, vcc_lo
	global_load_b32 v8, v[8:9], off
	global_load_b32 v9, v[10:11], off
	s_waitcnt vmcnt(1)
	v_cmp_neq_f32_e64 vcc_lo, 0x7f800000, |v8|
	v_cndmask_b32_e32 v8, 0xff800000, v8, vcc_lo
	s_waitcnt vmcnt(0)
	v_cmp_neq_f32_e64 vcc_lo, 0x7f800000, |v9|
	v_cndmask_b32_e32 v9, 0xff800000, v9, vcc_lo
	v_add_co_u32 v0, vcc_lo, s8, v0
	v_add_co_ci_u32_e32 v1, vcc_lo, s9, v1, vcc_lo
	s_delay_alu instid0(VALU_DEP_3) | instskip(NEXT) | instid1(VALU_DEP_1)
	v_dual_max_f32 v11, v9, v9 :: v_dual_max_f32 v10, v8, v8
	v_max_f32_e32 v19, v10, v11
	s_delay_alu instid0(VALU_DEP_1)
	v_cmpx_neq_f32_e64 0x7f800000, |v19|
	s_xor_b32 s2, exec_lo, s1
	s_cbranch_execz .LBB4_174
; %bb.89:
	v_sub_f32_e32 v9, v9, v19
	v_sub_f32_e32 v8, v8, v19
	s_mov_b32 s3, exec_lo
	s_delay_alu instid0(VALU_DEP_1) | instskip(SKIP_1) | instid1(VALU_DEP_2)
	v_dual_mul_f32 v11, 0x3fb8aa3b, v9 :: v_dual_mul_f32 v10, 0x3fb8aa3b, v8
	v_cmp_ngt_f32_e32 vcc_lo, 0xc2ce8ed0, v8
	v_fma_f32 v14, 0x3fb8aa3b, v9, -v11
	s_delay_alu instid0(VALU_DEP_3) | instskip(SKIP_2) | instid1(VALU_DEP_4)
	v_fma_f32 v12, 0x3fb8aa3b, v8, -v10
	v_rndne_f32_e32 v13, v10
	v_rndne_f32_e32 v15, v11
	v_fmac_f32_e32 v14, 0x32a5705f, v9
	s_delay_alu instid0(VALU_DEP_2) | instskip(NEXT) | instid1(VALU_DEP_1)
	v_dual_fmac_f32 v12, 0x32a5705f, v8 :: v_dual_sub_f32 v11, v11, v15
	v_dual_sub_f32 v10, v10, v13 :: v_dual_add_f32 v11, v11, v14
	s_delay_alu instid0(VALU_DEP_1) | instskip(SKIP_2) | instid1(VALU_DEP_4)
	v_add_f32_e32 v10, v10, v12
	v_cvt_i32_f32_e32 v12, v13
	v_cvt_i32_f32_e32 v13, v15
	v_exp_f32_e32 v11, v11
	s_delay_alu instid0(VALU_DEP_3) | instskip(SKIP_3) | instid1(VALU_DEP_1)
	v_exp_f32_e32 v10, v10
	s_waitcnt_depctr 0xfff
	v_ldexp_f32 v11, v11, v13
	v_ldexp_f32 v10, v10, v12
	v_cndmask_b32_e32 v10, 0, v10, vcc_lo
	v_cmp_ngt_f32_e32 vcc_lo, 0xc2ce8ed0, v9
	s_delay_alu instid0(VALU_DEP_4) | instskip(SKIP_1) | instid1(VALU_DEP_4)
	v_cndmask_b32_e32 v11, 0, v11, vcc_lo
	v_cmp_nlt_f32_e32 vcc_lo, 0x42b17218, v8
	v_cndmask_b32_e32 v8, 0x7f800000, v10, vcc_lo
	v_cmp_nlt_f32_e32 vcc_lo, 0x42b17218, v9
	s_delay_alu instid0(VALU_DEP_4) | instskip(NEXT) | instid1(VALU_DEP_1)
	v_cndmask_b32_e32 v9, 0x7f800000, v11, vcc_lo
	v_add_f32_e32 v20, v8, v9
	v_cmpx_gt_u32_e64 s18, v5
	s_cbranch_execz .LBB4_171
; %bb.90:
	s_delay_alu instid0(VALU_DEP_2) | instskip(NEXT) | instid1(VALU_DEP_1)
	v_div_scale_f32 v15, null, v20, v20, v8
	v_rcp_f32_e32 v22, v15
	s_waitcnt_depctr 0xfff
	v_fma_f32 v24, -v15, v22, 1.0
	s_delay_alu instid0(VALU_DEP_1) | instskip(NEXT) | instid1(VALU_DEP_1)
	v_dual_mov_b32 v5, 0 :: v_dual_fmac_f32 v22, v24, v22
	v_lshlrev_b64 v[10:11], 4, v[4:5]
	s_delay_alu instid0(VALU_DEP_1) | instskip(NEXT) | instid1(VALU_DEP_2)
	v_add_co_u32 v0, vcc_lo, v0, v10
	v_add_co_ci_u32_e32 v1, vcc_lo, v1, v11, vcc_lo
	v_add_co_u32 v10, vcc_lo, v2, v10
	v_add_co_ci_u32_e32 v11, vcc_lo, v3, v11, vcc_lo
	global_load_b128 v[0:3], v[0:1], off
	global_load_b128 v[11:14], v[10:11], off
	v_div_scale_f32 v10, null, v20, v20, v9
	v_div_scale_f32 v25, vcc_lo, v9, v20, v9
	s_delay_alu instid0(VALU_DEP_2) | instskip(SKIP_2) | instid1(VALU_DEP_1)
	v_rcp_f32_e32 v21, v10
	s_waitcnt_depctr 0xfff
	v_fma_f32 v23, -v10, v21, 1.0
	v_fmac_f32_e32 v21, v23, v21
	v_div_scale_f32 v23, s0, v8, v20, v8
	s_delay_alu instid0(VALU_DEP_1) | instskip(NEXT) | instid1(VALU_DEP_1)
	v_mul_f32_e32 v26, v23, v22
	v_fma_f32 v28, -v15, v26, v23
	s_delay_alu instid0(VALU_DEP_1) | instskip(SKIP_1) | instid1(VALU_DEP_2)
	v_fmac_f32_e32 v26, v28, v22
	v_mul_f32_e32 v24, v25, v21
	v_fma_f32 v15, -v15, v26, v23
	s_delay_alu instid0(VALU_DEP_2) | instskip(NEXT) | instid1(VALU_DEP_1)
	v_fma_f32 v27, -v10, v24, v25
	v_fmac_f32_e32 v24, v27, v21
	s_delay_alu instid0(VALU_DEP_1) | instskip(NEXT) | instid1(VALU_DEP_1)
	v_fma_f32 v10, -v10, v24, v25
	v_div_fmas_f32 v10, v10, v21, v24
	s_mov_b32 vcc_lo, s0
	s_mov_b32 s0, 0x43600000
	v_div_fmas_f32 v15, v15, v22, v26
	s_delay_alu instid0(VALU_DEP_2) | instskip(NEXT) | instid1(VALU_DEP_2)
	v_div_fixup_f32 v21, v10, v20, v9
	v_div_fixup_f32 v15, v15, v20, v8
	s_waitcnt vmcnt(1)
	v_lshrrev_b32_e32 v8, 16, v0
	v_and_b32_e32 v0, 0xffff, v0
	s_waitcnt vmcnt(0)
	v_and_b32_e32 v9, 0xffff, v11
	;;#ASMSTART
	v_cvt_f32_f16 v0, v0;
	;;#ASMEND
	;;#ASMSTART
	v_cvt_f32_f16 v9, v9;
	;;#ASMEND
	s_delay_alu instid0(VALU_DEP_1)
	v_mul_f32_e32 v9, v21, v9
	v_lshrrev_b32_e32 v22, 16, v2
	v_lshrrev_b32_e32 v24, 16, v12
	;; [unrolled: 1-line block ×4, first 2 shown]
	v_fmac_f32_e32 v9, v15, v0
	v_and_b32_e32 v0, 0xffff, v12
	v_and_b32_e32 v12, 0xffff, v2
	;; [unrolled: 1-line block ×4, first 2 shown]
	v_mul_f32_e32 v2, v18, v9
	v_lshrrev_b32_e32 v11, 16, v11
	;;#ASMSTART
	v_cvt_f32_f16 v8, v8;
	;;#ASMEND
	;;#ASMSTART
	v_cvt_f32_f16 v9, v11;
	;;#ASMEND
	;; [unrolled: 3-line block ×3, first 2 shown]
	v_minmax_f32 v2, v2, s0, 0xc3600000
	;;#ASMSTART
	v_cvt_f32_f16 v28, v0;
	;;#ASMEND
	v_mov_b32_e32 v1, v5
	v_lshrrev_b32_e32 v25, 16, v13
	v_and_b32_e32 v13, 0xffff, v13
	v_and_b32_e32 v0, 0x7f800000, v2
	v_lshrrev_b32_e32 v29, 24, v2
	;;#ASMSTART
	v_cvt_f32_f16 v10, v10;
	;;#ASMEND
	;;#ASMSTART
	v_cvt_f32_f16 v11, v24;
	;;#ASMEND
	;; [unrolled: 3-line block ×3, first 2 shown]
	v_cmp_ne_u64_e32 vcc_lo, 0x7f800000, v[0:1]
	v_or_b32_e32 v0, 0x7f, v29
	;;#ASMSTART
	v_cvt_f32_f16 v26, v13;
	;;#ASMEND
	;;#ASMSTART
	v_cvt_f32_f16 v13, v22;
	;;#ASMEND
	v_and_b32_e32 v22, 0xffff, v14
	v_lshrrev_b32_e32 v30, 16, v14
	;;#ASMSTART
	v_cvt_f32_f16 v25, v25;
	;;#ASMEND
	;;#ASMSTART
	v_cvt_f32_f16 v14, v3;
	;;#ASMEND
	;; [unrolled: 3-line block ×5, first 2 shown]
	s_and_saveexec_b32 s0, vcc_lo
	s_delay_alu instid0(SALU_CYCLE_1)
	s_xor_b32 s4, exec_lo, s0
	s_cbranch_execz .LBB4_100
; %bb.91:
	v_dual_mov_b32 v31, v5 :: v_dual_and_b32 v30, 0x7fffffff, v2
	s_mov_b32 s0, exec_lo
	s_delay_alu instid0(VALU_DEP_1)
	v_cmpx_gt_u64_e32 0x43700001, v[30:31]
	s_xor_b32 s5, exec_lo, s0
	s_cbranch_execz .LBB4_99
; %bb.92:
	s_mov_b32 s8, exec_lo
	v_mov_b32_e32 v0, 0
	v_mov_b32_e32 v1, 0
	v_cmpx_ne_u32_e32 0, v2
	s_cbranch_execz .LBB4_98
; %bb.93:
	v_bfe_u32 v34, v2, 23, 8
	v_dual_mov_b32 v1, 0 :: v_dual_and_b32 v2, 0x7fffff, v2
	s_delay_alu instid0(VALU_DEP_2) | instskip(SKIP_2) | instid1(VALU_DEP_3)
	v_sub_nc_u32_e64 v0, 0x78, v34 clamp
	v_cmp_eq_u32_e32 vcc_lo, 0, v34
	v_add_nc_u32_e32 v34, 0xffffff89, v34
	v_cndmask_b32_e64 v35, v0, 0x77, vcc_lo
	v_or_b32_e32 v0, 0x800000, v2
	s_delay_alu instid0(VALU_DEP_1) | instskip(SKIP_1) | instid1(VALU_DEP_2)
	v_dual_cndmask_b32 v0, v0, v2 :: v_dual_add_nc_u32 v3, 20, v35
	v_add_nc_u32_e32 v30, 19, v35
	v_lshlrev_b64 v[2:3], v3, -1
	v_mov_b32_e32 v3, v1
	s_delay_alu instid0(VALU_DEP_4) | instskip(NEXT) | instid1(VALU_DEP_4)
	v_lshrrev_b64 v[32:33], v35, v[0:1]
	v_lshlrev_b64 v[30:31], v30, 1
	s_delay_alu instid0(VALU_DEP_4) | instskip(NEXT) | instid1(VALU_DEP_1)
	v_not_b32_e32 v2, v2
	v_and_b32_e32 v2, v0, v2
	s_delay_alu instid0(VALU_DEP_4) | instskip(NEXT) | instid1(VALU_DEP_2)
	v_and_b32_e32 v0, 0x100000, v32
	v_cmp_eq_u64_e64 s0, v[2:3], v[30:31]
	s_delay_alu instid0(VALU_DEP_2) | instskip(SKIP_2) | instid1(VALU_DEP_3)
	v_cmp_eq_u64_e64 s1, 0, v[0:1]
	v_cndmask_b32_e64 v0, v34, 0xffffff8a, vcc_lo
	v_lshrrev_b32_e32 v2, 23, v32
	s_and_b32 vcc_lo, s1, s0
	s_delay_alu instid0(VALU_DEP_1) | instskip(SKIP_2) | instid1(VALU_DEP_2)
	v_add3_u32 v30, v0, v35, v2
	v_subrev_co_ci_u32_e32 v3, vcc_lo, 0, v32, vcc_lo
	s_mov_b32 s0, exec_lo
	v_add_nc_u32_e32 v31, -1, v30
	s_delay_alu instid0(VALU_DEP_2) | instskip(NEXT) | instid1(VALU_DEP_1)
	v_and_b32_e32 v0, 0xfffff, v3
	v_add_co_u32 v2, vcc_lo, v0, v32
	v_add_co_ci_u32_e32 v3, vcc_lo, 0, v33, vcc_lo
                                        ; implicit-def: $vgpr0
	s_delay_alu instid0(VALU_DEP_4)
	v_cmpx_ne_u32_e32 0, v31
	s_xor_b32 s0, exec_lo, s0
; %bb.94:
	s_delay_alu instid0(VALU_DEP_3) | instskip(SKIP_1) | instid1(VALU_DEP_2)
	v_and_b32_e32 v0, 0x1000000, v2
	v_bfe_u32 v32, v2, 24, 1
	v_cmp_eq_u64_e32 vcc_lo, 0, v[0:1]
	s_delay_alu instid0(VALU_DEP_2)
	v_lshrrev_b64 v[2:3], v32, v[2:3]
	v_cndmask_b32_e32 v0, v30, v31, vcc_lo
; %bb.95:
	s_and_not1_saveexec_b32 s0, s0
; %bb.96:
	s_delay_alu instid0(VALU_DEP_2)
	v_bfe_u32 v0, v2, 23, 1
; %bb.97:
	s_or_b32 exec_lo, exec_lo, s0
	s_delay_alu instid0(VALU_DEP_3) | instskip(NEXT) | instid1(VALU_DEP_2)
	v_lshrrev_b64 v[1:2], 20, v[2:3]
	v_cmp_gt_i32_e32 vcc_lo, 16, v0
	v_and_b32_e32 v3, 0x80, v29
	v_min_i32_e32 v29, 15, v0
	v_cmp_eq_u32_e64 s0, 0, v0
	v_dual_cndmask_b32 v2, 0, v2 :: v_dual_cndmask_b32 v1, 7, v1
	s_delay_alu instid0(VALU_DEP_3) | instskip(NEXT) | instid1(VALU_DEP_2)
	v_lshl_or_b32 v3, v29, 3, v3
	v_cmp_eq_u64_e32 vcc_lo, 0, v[1:2]
	s_delay_alu instid0(VALU_DEP_2)
	v_and_or_b32 v0, v1, 7, v3
	s_and_b32 s0, s0, vcc_lo
	s_delay_alu instid0(VALU_DEP_1) | instid1(SALU_CYCLE_1)
	v_cndmask_b32_e64 v0, v0, 0, s0
.LBB4_98:
	s_or_b32 exec_lo, exec_lo, s8
.LBB4_99:
	s_and_not1_saveexec_b32 s0, s5
	s_delay_alu instid0(SALU_CYCLE_1)
	s_or_b32 exec_lo, exec_lo, s0
.LBB4_100:
	s_and_not1_saveexec_b32 s0, s4
	s_delay_alu instid0(SALU_CYCLE_1) | instskip(SKIP_3) | instid1(VALU_DEP_2)
	s_or_b32 exec_lo, exec_lo, s0
	v_mul_f32_e32 v1, v21, v9
	s_mov_b32 s0, 0x43600000
	v_mov_b32_e32 v3, 0
	v_fmac_f32_e32 v1, v15, v8
	s_delay_alu instid0(VALU_DEP_1) | instskip(NEXT) | instid1(VALU_DEP_1)
	v_mul_f32_e32 v1, v18, v1
	v_minmax_f32 v8, v1, s0, 0xc3600000
	s_mov_b32 s0, exec_lo
	s_delay_alu instid0(VALU_DEP_1) | instskip(SKIP_1) | instid1(VALU_DEP_1)
	v_and_b32_e32 v2, 0x7f800000, v8
	v_lshrrev_b32_e32 v29, 24, v8
	v_or_b32_e32 v1, 0x7f, v29
	s_delay_alu instid0(VALU_DEP_3)
	v_cmpx_ne_u64_e32 0x7f800000, v[2:3]
	s_xor_b32 s4, exec_lo, s0
	s_cbranch_execz .LBB4_110
; %bb.101:
	v_and_b32_e32 v2, 0x7fffffff, v8
	s_mov_b32 s0, exec_lo
	s_delay_alu instid0(VALU_DEP_1)
	v_cmpx_gt_u64_e32 0x43700001, v[2:3]
	s_xor_b32 s5, exec_lo, s0
	s_cbranch_execz .LBB4_109
; %bb.102:
	s_mov_b32 s8, exec_lo
	v_mov_b32_e32 v1, 0
	v_mov_b32_e32 v2, 0
	v_cmpx_ne_u32_e32 0, v8
	s_cbranch_execz .LBB4_108
; %bb.103:
	v_bfe_u32 v3, v8, 23, 8
	v_mov_b32_e32 v2, 0
	v_and_b32_e32 v8, 0x7fffff, v8
	s_delay_alu instid0(VALU_DEP_3) | instskip(SKIP_2) | instid1(VALU_DEP_3)
	v_sub_nc_u32_e64 v1, 0x78, v3 clamp
	v_cmp_eq_u32_e32 vcc_lo, 0, v3
	v_add_nc_u32_e32 v3, 0xffffff89, v3
	v_cndmask_b32_e64 v30, v1, 0x77, vcc_lo
	v_or_b32_e32 v1, 0x800000, v8
	s_delay_alu instid0(VALU_DEP_2) | instskip(SKIP_1) | instid1(VALU_DEP_3)
	v_add_nc_u32_e32 v9, 20, v30
	v_add_nc_u32_e32 v33, 19, v30
	v_cndmask_b32_e32 v1, v1, v8, vcc_lo
	s_delay_alu instid0(VALU_DEP_3) | instskip(NEXT) | instid1(VALU_DEP_3)
	v_lshlrev_b64 v[8:9], v9, -1
	v_lshlrev_b64 v[33:34], v33, 1
	v_mov_b32_e32 v9, v2
	s_delay_alu instid0(VALU_DEP_4) | instskip(NEXT) | instid1(VALU_DEP_4)
	v_lshrrev_b64 v[31:32], v30, v[1:2]
	v_not_b32_e32 v8, v8
	s_delay_alu instid0(VALU_DEP_1) | instskip(NEXT) | instid1(VALU_DEP_3)
	v_and_b32_e32 v8, v1, v8
	v_and_b32_e32 v1, 0x100000, v31
	s_delay_alu instid0(VALU_DEP_2) | instskip(NEXT) | instid1(VALU_DEP_2)
	v_cmp_eq_u64_e64 s0, v[8:9], v[33:34]
	v_cmp_eq_u64_e64 s1, 0, v[1:2]
	v_cndmask_b32_e64 v1, v3, 0xffffff8a, vcc_lo
	v_lshrrev_b32_e32 v3, 23, v31
	s_delay_alu instid0(VALU_DEP_3) | instskip(NEXT) | instid1(VALU_DEP_1)
	s_and_b32 vcc_lo, s1, s0
	v_add3_u32 v3, v1, v30, v3
	s_mov_b32 s0, exec_lo
	v_subrev_co_ci_u32_e32 v8, vcc_lo, 0, v31, vcc_lo
	s_delay_alu instid0(VALU_DEP_2) | instskip(NEXT) | instid1(VALU_DEP_2)
	v_add_nc_u32_e32 v30, -1, v3
	v_and_b32_e32 v1, 0xfffff, v8
	s_delay_alu instid0(VALU_DEP_1) | instskip(SKIP_1) | instid1(VALU_DEP_4)
	v_add_co_u32 v8, vcc_lo, v1, v31
                                        ; implicit-def: $vgpr1
	v_add_co_ci_u32_e32 v9, vcc_lo, 0, v32, vcc_lo
	v_cmpx_ne_u32_e32 0, v30
	s_xor_b32 s0, exec_lo, s0
; %bb.104:
	s_delay_alu instid0(VALU_DEP_3) | instskip(SKIP_1) | instid1(VALU_DEP_2)
	v_and_b32_e32 v1, 0x1000000, v8
	v_bfe_u32 v31, v8, 24, 1
	v_cmp_eq_u64_e32 vcc_lo, 0, v[1:2]
	s_delay_alu instid0(VALU_DEP_2)
	v_lshrrev_b64 v[8:9], v31, v[8:9]
	v_cndmask_b32_e32 v1, v3, v30, vcc_lo
; %bb.105:
	s_and_not1_saveexec_b32 s0, s0
; %bb.106:
	s_delay_alu instid0(VALU_DEP_2)
	v_bfe_u32 v1, v8, 23, 1
; %bb.107:
	s_or_b32 exec_lo, exec_lo, s0
	s_delay_alu instid0(VALU_DEP_3) | instskip(NEXT) | instid1(VALU_DEP_2)
	v_lshrrev_b64 v[2:3], 20, v[8:9]
	v_cmp_gt_i32_e32 vcc_lo, 16, v1
	v_and_b32_e32 v8, 0x80, v29
	v_min_i32_e32 v9, 15, v1
	v_cmp_eq_u32_e64 s0, 0, v1
	v_dual_cndmask_b32 v3, 0, v3 :: v_dual_cndmask_b32 v2, 7, v2
	s_delay_alu instid0(VALU_DEP_3) | instskip(NEXT) | instid1(VALU_DEP_2)
	v_lshl_or_b32 v8, v9, 3, v8
	v_cmp_eq_u64_e32 vcc_lo, 0, v[2:3]
	s_delay_alu instid0(VALU_DEP_2)
	v_and_or_b32 v1, v2, 7, v8
	s_and_b32 s0, s0, vcc_lo
	s_delay_alu instid0(VALU_DEP_1) | instid1(SALU_CYCLE_1)
	v_cndmask_b32_e64 v1, v1, 0, s0
.LBB4_108:
	s_or_b32 exec_lo, exec_lo, s8
.LBB4_109:
	s_and_not1_saveexec_b32 s0, s5
	s_delay_alu instid0(SALU_CYCLE_1)
	s_or_b32 exec_lo, exec_lo, s0
.LBB4_110:
	s_and_not1_saveexec_b32 s0, s4
	s_delay_alu instid0(SALU_CYCLE_1) | instskip(SKIP_2) | instid1(VALU_DEP_1)
	s_or_b32 exec_lo, exec_lo, s0
	v_dual_mul_f32 v2, v21, v28 :: v_dual_mov_b32 v9, 0
	s_mov_b32 s0, 0x43600000
	v_fmac_f32_e32 v2, v15, v27
	s_delay_alu instid0(VALU_DEP_1) | instskip(NEXT) | instid1(VALU_DEP_1)
	v_mul_f32_e32 v2, v18, v2
	v_minmax_f32 v28, v2, s0, 0xc3600000
	s_mov_b32 s0, exec_lo
	s_delay_alu instid0(VALU_DEP_1) | instskip(SKIP_1) | instid1(VALU_DEP_2)
	v_lshrrev_b32_e32 v27, 24, v28
	v_and_b32_e32 v8, 0x7f800000, v28
	v_or_b32_e32 v2, 0x7f, v27
	s_delay_alu instid0(VALU_DEP_2)
	v_cmpx_ne_u64_e32 0x7f800000, v[8:9]
	s_xor_b32 s4, exec_lo, s0
	s_cbranch_execz .LBB4_120
; %bb.111:
	v_and_b32_e32 v8, 0x7fffffff, v28
	s_mov_b32 s0, exec_lo
	s_delay_alu instid0(VALU_DEP_1)
	v_cmpx_gt_u64_e32 0x43700001, v[8:9]
	s_xor_b32 s5, exec_lo, s0
	s_cbranch_execz .LBB4_119
; %bb.112:
	s_mov_b32 s8, exec_lo
	v_mov_b32_e32 v2, 0
	v_mov_b32_e32 v3, 0
	v_cmpx_ne_u32_e32 0, v28
	s_cbranch_execz .LBB4_118
; %bb.113:
	v_bfe_u32 v32, v28, 23, 8
	v_dual_mov_b32 v3, 0 :: v_dual_and_b32 v8, 0x7fffff, v28
	s_delay_alu instid0(VALU_DEP_2) | instskip(SKIP_2) | instid1(VALU_DEP_3)
	v_sub_nc_u32_e64 v2, 0x78, v32 clamp
	v_cmp_eq_u32_e32 vcc_lo, 0, v32
	v_add_nc_u32_e32 v32, 0xffffff89, v32
	v_cndmask_b32_e64 v33, v2, 0x77, vcc_lo
	v_or_b32_e32 v2, 0x800000, v8
	s_delay_alu instid0(VALU_DEP_1) | instskip(SKIP_1) | instid1(VALU_DEP_2)
	v_dual_cndmask_b32 v2, v2, v8 :: v_dual_add_nc_u32 v9, 20, v33
	v_add_nc_u32_e32 v28, 19, v33
	v_lshlrev_b64 v[8:9], v9, -1
	v_mov_b32_e32 v9, v3
	s_delay_alu instid0(VALU_DEP_4) | instskip(NEXT) | instid1(VALU_DEP_4)
	v_lshrrev_b64 v[30:31], v33, v[2:3]
	v_lshlrev_b64 v[28:29], v28, 1
	s_delay_alu instid0(VALU_DEP_4) | instskip(NEXT) | instid1(VALU_DEP_1)
	v_not_b32_e32 v8, v8
	v_and_b32_e32 v8, v2, v8
	s_delay_alu instid0(VALU_DEP_4) | instskip(NEXT) | instid1(VALU_DEP_2)
	v_and_b32_e32 v2, 0x100000, v30
	v_cmp_eq_u64_e64 s0, v[8:9], v[28:29]
	s_delay_alu instid0(VALU_DEP_2) | instskip(SKIP_2) | instid1(VALU_DEP_3)
	v_cmp_eq_u64_e64 s1, 0, v[2:3]
	v_cndmask_b32_e64 v2, v32, 0xffffff8a, vcc_lo
	v_lshrrev_b32_e32 v8, 23, v30
	s_and_b32 vcc_lo, s1, s0
	s_delay_alu instid0(VALU_DEP_1) | instskip(SKIP_2) | instid1(VALU_DEP_2)
	v_add3_u32 v28, v2, v33, v8
	v_subrev_co_ci_u32_e32 v9, vcc_lo, 0, v30, vcc_lo
	s_mov_b32 s0, exec_lo
	v_add_nc_u32_e32 v29, -1, v28
	s_delay_alu instid0(VALU_DEP_2) | instskip(NEXT) | instid1(VALU_DEP_1)
	v_and_b32_e32 v2, 0xfffff, v9
	v_add_co_u32 v8, vcc_lo, v2, v30
	v_add_co_ci_u32_e32 v9, vcc_lo, 0, v31, vcc_lo
                                        ; implicit-def: $vgpr2
	s_delay_alu instid0(VALU_DEP_4)
	v_cmpx_ne_u32_e32 0, v29
	s_xor_b32 s0, exec_lo, s0
; %bb.114:
	s_delay_alu instid0(VALU_DEP_3) | instskip(SKIP_1) | instid1(VALU_DEP_2)
	v_and_b32_e32 v2, 0x1000000, v8
	v_bfe_u32 v30, v8, 24, 1
	v_cmp_eq_u64_e32 vcc_lo, 0, v[2:3]
	s_delay_alu instid0(VALU_DEP_2)
	v_lshrrev_b64 v[8:9], v30, v[8:9]
	v_cndmask_b32_e32 v2, v28, v29, vcc_lo
; %bb.115:
	s_and_not1_saveexec_b32 s0, s0
; %bb.116:
	s_delay_alu instid0(VALU_DEP_2)
	v_bfe_u32 v2, v8, 23, 1
; %bb.117:
	s_or_b32 exec_lo, exec_lo, s0
	s_delay_alu instid0(VALU_DEP_3) | instskip(NEXT) | instid1(VALU_DEP_2)
	v_lshrrev_b64 v[8:9], 20, v[8:9]
	v_cmp_gt_i32_e32 vcc_lo, 16, v2
	v_and_b32_e32 v3, 0x80, v27
	v_min_i32_e32 v27, 15, v2
	v_cmp_eq_u32_e64 s0, 0, v2
	v_dual_cndmask_b32 v8, 7, v8 :: v_dual_cndmask_b32 v9, 0, v9
	s_delay_alu instid0(VALU_DEP_3) | instskip(NEXT) | instid1(VALU_DEP_2)
	v_lshl_or_b32 v3, v27, 3, v3
	v_cmp_eq_u64_e32 vcc_lo, 0, v[8:9]
	s_delay_alu instid0(VALU_DEP_2)
	v_and_or_b32 v2, v8, 7, v3
	s_and_b32 s0, s0, vcc_lo
	s_delay_alu instid0(VALU_DEP_1) | instid1(SALU_CYCLE_1)
	v_cndmask_b32_e64 v2, v2, 0, s0
.LBB4_118:
	s_or_b32 exec_lo, exec_lo, s8
.LBB4_119:
	s_and_not1_saveexec_b32 s0, s5
	s_delay_alu instid0(SALU_CYCLE_1)
	s_or_b32 exec_lo, exec_lo, s0
.LBB4_120:
	s_and_not1_saveexec_b32 s0, s4
	s_delay_alu instid0(SALU_CYCLE_1) | instskip(SKIP_2) | instid1(VALU_DEP_1)
	s_or_b32 exec_lo, exec_lo, s0
	v_mul_f32_e32 v3, v21, v11
	s_mov_b32 s0, 0x43600000
	v_dual_fmac_f32 v3, v15, v10 :: v_dual_mov_b32 v10, 0
	s_delay_alu instid0(VALU_DEP_1) | instskip(NEXT) | instid1(VALU_DEP_1)
	v_mul_f32_e32 v3, v18, v3
	v_minmax_f32 v11, v3, s0, 0xc3600000
	s_mov_b32 s0, exec_lo
	s_delay_alu instid0(VALU_DEP_1) | instskip(SKIP_1) | instid1(VALU_DEP_2)
	v_lshrrev_b32_e32 v3, 24, v11
	v_and_b32_e32 v9, 0x7f800000, v11
	v_or_b32_e32 v8, 0x7f, v3
	s_delay_alu instid0(VALU_DEP_2)
	v_cmpx_ne_u64_e32 0x7f800000, v[9:10]
	s_xor_b32 s4, exec_lo, s0
	s_cbranch_execz .LBB4_130
; %bb.121:
	v_and_b32_e32 v9, 0x7fffffff, v11
	s_mov_b32 s0, exec_lo
	s_delay_alu instid0(VALU_DEP_1)
	v_cmpx_gt_u64_e32 0x43700001, v[9:10]
	s_xor_b32 s5, exec_lo, s0
	s_cbranch_execz .LBB4_129
; %bb.122:
	s_mov_b32 s8, exec_lo
	v_mov_b32_e32 v8, 0
	v_mov_b32_e32 v9, 0
	v_cmpx_ne_u32_e32 0, v11
	s_cbranch_execz .LBB4_128
; %bb.123:
	v_bfe_u32 v31, v11, 23, 8
	v_dual_mov_b32 v9, 0 :: v_dual_and_b32 v10, 0x7fffff, v11
	s_delay_alu instid0(VALU_DEP_2) | instskip(SKIP_2) | instid1(VALU_DEP_3)
	v_sub_nc_u32_e64 v8, 0x78, v31 clamp
	v_cmp_eq_u32_e32 vcc_lo, 0, v31
	v_add_nc_u32_e32 v31, 0xffffff89, v31
	v_cndmask_b32_e64 v32, v8, 0x77, vcc_lo
	v_or_b32_e32 v8, 0x800000, v10
	s_delay_alu instid0(VALU_DEP_1) | instskip(SKIP_1) | instid1(VALU_DEP_2)
	v_dual_cndmask_b32 v8, v8, v10 :: v_dual_add_nc_u32 v11, 20, v32
	v_add_nc_u32_e32 v27, 19, v32
	v_lshlrev_b64 v[10:11], v11, -1
	s_delay_alu instid0(VALU_DEP_3) | instskip(NEXT) | instid1(VALU_DEP_3)
	v_lshrrev_b64 v[29:30], v32, v[8:9]
	v_lshlrev_b64 v[27:28], v27, 1
	s_delay_alu instid0(VALU_DEP_3) | instskip(NEXT) | instid1(VALU_DEP_1)
	v_not_b32_e32 v10, v10
	v_dual_mov_b32 v11, v9 :: v_dual_and_b32 v10, v8, v10
	s_delay_alu instid0(VALU_DEP_4) | instskip(NEXT) | instid1(VALU_DEP_2)
	v_and_b32_e32 v8, 0x100000, v29
	v_cmp_eq_u64_e64 s0, v[10:11], v[27:28]
	s_delay_alu instid0(VALU_DEP_2) | instskip(SKIP_2) | instid1(VALU_DEP_3)
	v_cmp_eq_u64_e64 s1, 0, v[8:9]
	v_cndmask_b32_e64 v8, v31, 0xffffff8a, vcc_lo
	v_lshrrev_b32_e32 v10, 23, v29
	s_and_b32 vcc_lo, s1, s0
	s_delay_alu instid0(VALU_DEP_1) | instskip(SKIP_2) | instid1(VALU_DEP_2)
	v_add3_u32 v27, v8, v32, v10
	v_subrev_co_ci_u32_e32 v11, vcc_lo, 0, v29, vcc_lo
	s_mov_b32 s0, exec_lo
	v_add_nc_u32_e32 v28, -1, v27
	s_delay_alu instid0(VALU_DEP_2) | instskip(NEXT) | instid1(VALU_DEP_1)
	v_and_b32_e32 v8, 0xfffff, v11
	v_add_co_u32 v10, vcc_lo, v8, v29
	v_add_co_ci_u32_e32 v11, vcc_lo, 0, v30, vcc_lo
                                        ; implicit-def: $vgpr8
	s_delay_alu instid0(VALU_DEP_4)
	v_cmpx_ne_u32_e32 0, v28
	s_xor_b32 s0, exec_lo, s0
; %bb.124:
	s_delay_alu instid0(VALU_DEP_3) | instskip(SKIP_1) | instid1(VALU_DEP_2)
	v_and_b32_e32 v8, 0x1000000, v10
	v_bfe_u32 v29, v10, 24, 1
	v_cmp_eq_u64_e32 vcc_lo, 0, v[8:9]
	s_delay_alu instid0(VALU_DEP_2)
	v_lshrrev_b64 v[10:11], v29, v[10:11]
	v_cndmask_b32_e32 v8, v27, v28, vcc_lo
; %bb.125:
	s_and_not1_saveexec_b32 s0, s0
; %bb.126:
	s_delay_alu instid0(VALU_DEP_2)
	v_bfe_u32 v8, v10, 23, 1
; %bb.127:
	s_or_b32 exec_lo, exec_lo, s0
	s_delay_alu instid0(VALU_DEP_3) | instskip(NEXT) | instid1(VALU_DEP_2)
	v_lshrrev_b64 v[9:10], 20, v[10:11]
	v_cmp_gt_i32_e32 vcc_lo, 16, v8
	v_and_b32_e32 v3, 0x80, v3
	v_min_i32_e32 v11, 15, v8
	v_cmp_eq_u32_e64 s0, 0, v8
	v_dual_cndmask_b32 v10, 0, v10 :: v_dual_cndmask_b32 v9, 7, v9
	s_delay_alu instid0(VALU_DEP_3) | instskip(NEXT) | instid1(VALU_DEP_2)
	v_lshl_or_b32 v3, v11, 3, v3
	v_cmp_eq_u64_e32 vcc_lo, 0, v[9:10]
	s_delay_alu instid0(VALU_DEP_2)
	v_and_or_b32 v3, v9, 7, v3
	s_and_b32 s0, s0, vcc_lo
	s_delay_alu instid0(VALU_DEP_1) | instid1(SALU_CYCLE_1)
	v_cndmask_b32_e64 v8, v3, 0, s0
.LBB4_128:
	s_or_b32 exec_lo, exec_lo, s8
.LBB4_129:
	s_and_not1_saveexec_b32 s0, s5
	s_delay_alu instid0(SALU_CYCLE_1)
	s_or_b32 exec_lo, exec_lo, s0
.LBB4_130:
	s_and_not1_saveexec_b32 s0, s4
	s_delay_alu instid0(SALU_CYCLE_1) | instskip(SKIP_3) | instid1(VALU_DEP_2)
	s_or_b32 exec_lo, exec_lo, s0
	v_mul_f32_e32 v3, v21, v26
	s_mov_b32 s0, 0x43600000
	v_mov_b32_e32 v11, 0
	v_fmac_f32_e32 v3, v15, v12
	s_delay_alu instid0(VALU_DEP_1) | instskip(NEXT) | instid1(VALU_DEP_1)
	v_mul_f32_e32 v3, v18, v3
	v_minmax_f32 v12, v3, s0, 0xc3600000
	s_mov_b32 s0, exec_lo
	s_delay_alu instid0(VALU_DEP_1) | instskip(SKIP_1) | instid1(VALU_DEP_1)
	v_and_b32_e32 v10, 0x7f800000, v12
	v_lshrrev_b32_e32 v3, 24, v12
	v_or_b32_e32 v9, 0x7f, v3
	s_delay_alu instid0(VALU_DEP_3)
	v_cmpx_ne_u64_e32 0x7f800000, v[10:11]
	s_xor_b32 s4, exec_lo, s0
	s_cbranch_execz .LBB4_140
; %bb.131:
	v_and_b32_e32 v10, 0x7fffffff, v12
	s_mov_b32 s0, exec_lo
	s_delay_alu instid0(VALU_DEP_1)
	v_cmpx_gt_u64_e32 0x43700001, v[10:11]
	s_xor_b32 s5, exec_lo, s0
	s_cbranch_execz .LBB4_139
; %bb.132:
	s_mov_b32 s8, exec_lo
	v_mov_b32_e32 v9, 0
	v_mov_b32_e32 v10, 0
	v_cmpx_ne_u32_e32 0, v12
	s_cbranch_execz .LBB4_138
; %bb.133:
	v_bfe_u32 v30, v12, 23, 8
	v_dual_mov_b32 v10, 0 :: v_dual_and_b32 v11, 0x7fffff, v12
	s_delay_alu instid0(VALU_DEP_2) | instskip(SKIP_2) | instid1(VALU_DEP_3)
	v_sub_nc_u32_e64 v9, 0x78, v30 clamp
	v_cmp_eq_u32_e32 vcc_lo, 0, v30
	v_add_nc_u32_e32 v30, 0xffffff89, v30
	v_cndmask_b32_e64 v31, v9, 0x77, vcc_lo
	v_or_b32_e32 v9, 0x800000, v11
	s_delay_alu instid0(VALU_DEP_2) | instskip(NEXT) | instid1(VALU_DEP_2)
	v_add_nc_u32_e32 v12, 20, v31
	v_cndmask_b32_e32 v9, v9, v11, vcc_lo
	v_add_nc_u32_e32 v26, 19, v31
	s_delay_alu instid0(VALU_DEP_3) | instskip(SKIP_1) | instid1(VALU_DEP_4)
	v_lshlrev_b64 v[11:12], v12, -1
	v_mov_b32_e32 v12, v10
	v_lshrrev_b64 v[28:29], v31, v[9:10]
	s_delay_alu instid0(VALU_DEP_4) | instskip(NEXT) | instid1(VALU_DEP_4)
	v_lshlrev_b64 v[26:27], v26, 1
	v_not_b32_e32 v11, v11
	s_delay_alu instid0(VALU_DEP_1) | instskip(NEXT) | instid1(VALU_DEP_4)
	v_and_b32_e32 v11, v9, v11
	v_and_b32_e32 v9, 0x100000, v28
	s_delay_alu instid0(VALU_DEP_2) | instskip(NEXT) | instid1(VALU_DEP_2)
	v_cmp_eq_u64_e64 s0, v[11:12], v[26:27]
	v_cmp_eq_u64_e64 s1, 0, v[9:10]
	v_cndmask_b32_e64 v9, v30, 0xffffff8a, vcc_lo
	v_lshrrev_b32_e32 v11, 23, v28
	s_delay_alu instid0(VALU_DEP_3) | instskip(NEXT) | instid1(VALU_DEP_1)
	s_and_b32 vcc_lo, s1, s0
	v_add3_u32 v26, v9, v31, v11
	v_subrev_co_ci_u32_e32 v12, vcc_lo, 0, v28, vcc_lo
	s_mov_b32 s0, exec_lo
	s_delay_alu instid0(VALU_DEP_2) | instskip(NEXT) | instid1(VALU_DEP_2)
	v_add_nc_u32_e32 v27, -1, v26
	v_and_b32_e32 v9, 0xfffff, v12
	s_delay_alu instid0(VALU_DEP_1) | instskip(SKIP_1) | instid1(VALU_DEP_4)
	v_add_co_u32 v11, vcc_lo, v9, v28
	v_add_co_ci_u32_e32 v12, vcc_lo, 0, v29, vcc_lo
                                        ; implicit-def: $vgpr9
	v_cmpx_ne_u32_e32 0, v27
	s_xor_b32 s0, exec_lo, s0
; %bb.134:
	s_delay_alu instid0(VALU_DEP_3) | instskip(SKIP_1) | instid1(VALU_DEP_2)
	v_and_b32_e32 v9, 0x1000000, v11
	v_bfe_u32 v28, v11, 24, 1
	v_cmp_eq_u64_e32 vcc_lo, 0, v[9:10]
	s_delay_alu instid0(VALU_DEP_2)
	v_lshrrev_b64 v[11:12], v28, v[11:12]
	v_cndmask_b32_e32 v9, v26, v27, vcc_lo
; %bb.135:
	s_and_not1_saveexec_b32 s0, s0
; %bb.136:
	s_delay_alu instid0(VALU_DEP_2)
	v_bfe_u32 v9, v11, 23, 1
; %bb.137:
	s_or_b32 exec_lo, exec_lo, s0
	s_delay_alu instid0(VALU_DEP_3) | instskip(NEXT) | instid1(VALU_DEP_2)
	v_lshrrev_b64 v[10:11], 20, v[11:12]
	v_cmp_gt_i32_e32 vcc_lo, 16, v9
	v_and_b32_e32 v3, 0x80, v3
	v_min_i32_e32 v12, 15, v9
	v_cmp_eq_u32_e64 s0, 0, v9
	v_dual_cndmask_b32 v10, 7, v10 :: v_dual_cndmask_b32 v11, 0, v11
	s_delay_alu instid0(VALU_DEP_3) | instskip(NEXT) | instid1(VALU_DEP_2)
	v_lshl_or_b32 v3, v12, 3, v3
	v_cmp_eq_u64_e32 vcc_lo, 0, v[10:11]
	s_delay_alu instid0(VALU_DEP_2)
	v_and_or_b32 v3, v10, 7, v3
	s_and_b32 s0, s0, vcc_lo
	s_delay_alu instid0(VALU_DEP_1) | instid1(SALU_CYCLE_1)
	v_cndmask_b32_e64 v9, v3, 0, s0
.LBB4_138:
	s_or_b32 exec_lo, exec_lo, s8
.LBB4_139:
	s_and_not1_saveexec_b32 s0, s5
	s_delay_alu instid0(SALU_CYCLE_1)
	s_or_b32 exec_lo, exec_lo, s0
.LBB4_140:
	s_and_not1_saveexec_b32 s0, s4
	s_delay_alu instid0(SALU_CYCLE_1) | instskip(SKIP_2) | instid1(VALU_DEP_1)
	s_or_b32 exec_lo, exec_lo, s0
	v_dual_mul_f32 v3, v21, v25 :: v_dual_mov_b32 v12, 0
	s_mov_b32 s0, 0x43600000
	v_fmac_f32_e32 v3, v15, v13
	s_delay_alu instid0(VALU_DEP_1) | instskip(NEXT) | instid1(VALU_DEP_1)
	v_mul_f32_e32 v3, v18, v3
	v_minmax_f32 v13, v3, s0, 0xc3600000
	s_mov_b32 s0, exec_lo
	s_delay_alu instid0(VALU_DEP_1) | instskip(SKIP_1) | instid1(VALU_DEP_2)
	v_lshrrev_b32_e32 v3, 24, v13
	v_and_b32_e32 v11, 0x7f800000, v13
	v_or_b32_e32 v10, 0x7f, v3
	s_delay_alu instid0(VALU_DEP_2)
	v_cmpx_ne_u64_e32 0x7f800000, v[11:12]
	s_xor_b32 s4, exec_lo, s0
	s_cbranch_execz .LBB4_150
; %bb.141:
	v_and_b32_e32 v11, 0x7fffffff, v13
	s_mov_b32 s0, exec_lo
	s_delay_alu instid0(VALU_DEP_1)
	v_cmpx_gt_u64_e32 0x43700001, v[11:12]
	s_xor_b32 s5, exec_lo, s0
	s_cbranch_execz .LBB4_149
; %bb.142:
	s_mov_b32 s8, exec_lo
	v_mov_b32_e32 v10, 0
	v_mov_b32_e32 v11, 0
	v_cmpx_ne_u32_e32 0, v13
	s_cbranch_execz .LBB4_148
; %bb.143:
	v_bfe_u32 v29, v13, 23, 8
	v_dual_mov_b32 v11, 0 :: v_dual_and_b32 v12, 0x7fffff, v13
	s_delay_alu instid0(VALU_DEP_2) | instskip(SKIP_2) | instid1(VALU_DEP_3)
	v_sub_nc_u32_e64 v10, 0x78, v29 clamp
	v_cmp_eq_u32_e32 vcc_lo, 0, v29
	v_add_nc_u32_e32 v29, 0xffffff89, v29
	v_cndmask_b32_e64 v30, v10, 0x77, vcc_lo
	v_or_b32_e32 v10, 0x800000, v12
	s_delay_alu instid0(VALU_DEP_1) | instskip(SKIP_1) | instid1(VALU_DEP_2)
	v_dual_cndmask_b32 v10, v10, v12 :: v_dual_add_nc_u32 v13, 20, v30
	v_add_nc_u32_e32 v25, 19, v30
	v_lshlrev_b64 v[12:13], v13, -1
	s_delay_alu instid0(VALU_DEP_3) | instskip(NEXT) | instid1(VALU_DEP_3)
	v_lshrrev_b64 v[27:28], v30, v[10:11]
	v_lshlrev_b64 v[25:26], v25, 1
	s_delay_alu instid0(VALU_DEP_3) | instskip(NEXT) | instid1(VALU_DEP_1)
	v_not_b32_e32 v12, v12
	v_dual_mov_b32 v13, v11 :: v_dual_and_b32 v12, v10, v12
	s_delay_alu instid0(VALU_DEP_4) | instskip(NEXT) | instid1(VALU_DEP_2)
	v_and_b32_e32 v10, 0x100000, v27
	v_cmp_eq_u64_e64 s0, v[12:13], v[25:26]
	s_delay_alu instid0(VALU_DEP_2) | instskip(SKIP_2) | instid1(VALU_DEP_3)
	v_cmp_eq_u64_e64 s1, 0, v[10:11]
	v_cndmask_b32_e64 v10, v29, 0xffffff8a, vcc_lo
	v_lshrrev_b32_e32 v12, 23, v27
	s_and_b32 vcc_lo, s1, s0
	s_delay_alu instid0(VALU_DEP_1) | instskip(SKIP_2) | instid1(VALU_DEP_2)
	v_add3_u32 v25, v10, v30, v12
	v_subrev_co_ci_u32_e32 v13, vcc_lo, 0, v27, vcc_lo
	s_mov_b32 s0, exec_lo
	v_add_nc_u32_e32 v26, -1, v25
	s_delay_alu instid0(VALU_DEP_2) | instskip(NEXT) | instid1(VALU_DEP_1)
	v_and_b32_e32 v10, 0xfffff, v13
	v_add_co_u32 v12, vcc_lo, v10, v27
	v_add_co_ci_u32_e32 v13, vcc_lo, 0, v28, vcc_lo
                                        ; implicit-def: $vgpr10
	s_delay_alu instid0(VALU_DEP_4)
	v_cmpx_ne_u32_e32 0, v26
	s_xor_b32 s0, exec_lo, s0
; %bb.144:
	s_delay_alu instid0(VALU_DEP_3) | instskip(SKIP_1) | instid1(VALU_DEP_2)
	v_and_b32_e32 v10, 0x1000000, v12
	v_bfe_u32 v27, v12, 24, 1
	v_cmp_eq_u64_e32 vcc_lo, 0, v[10:11]
	s_delay_alu instid0(VALU_DEP_2)
	v_lshrrev_b64 v[12:13], v27, v[12:13]
	v_cndmask_b32_e32 v10, v25, v26, vcc_lo
; %bb.145:
	s_and_not1_saveexec_b32 s0, s0
; %bb.146:
	s_delay_alu instid0(VALU_DEP_2)
	v_bfe_u32 v10, v12, 23, 1
; %bb.147:
	s_or_b32 exec_lo, exec_lo, s0
	s_delay_alu instid0(VALU_DEP_3) | instskip(NEXT) | instid1(VALU_DEP_2)
	v_lshrrev_b64 v[11:12], 20, v[12:13]
	v_cmp_gt_i32_e32 vcc_lo, 16, v10
	v_and_b32_e32 v3, 0x80, v3
	v_min_i32_e32 v13, 15, v10
	v_cmp_eq_u32_e64 s0, 0, v10
	v_dual_cndmask_b32 v12, 0, v12 :: v_dual_cndmask_b32 v11, 7, v11
	s_delay_alu instid0(VALU_DEP_3) | instskip(NEXT) | instid1(VALU_DEP_2)
	v_lshl_or_b32 v3, v13, 3, v3
	v_cmp_eq_u64_e32 vcc_lo, 0, v[11:12]
	s_delay_alu instid0(VALU_DEP_2)
	v_and_or_b32 v3, v11, 7, v3
	s_and_b32 s0, s0, vcc_lo
	s_delay_alu instid0(VALU_DEP_1) | instid1(SALU_CYCLE_1)
	v_cndmask_b32_e64 v10, v3, 0, s0
.LBB4_148:
	s_or_b32 exec_lo, exec_lo, s8
.LBB4_149:
	s_and_not1_saveexec_b32 s0, s5
	s_delay_alu instid0(SALU_CYCLE_1)
	s_or_b32 exec_lo, exec_lo, s0
.LBB4_150:
	s_and_not1_saveexec_b32 s0, s4
	s_delay_alu instid0(SALU_CYCLE_1) | instskip(SKIP_3) | instid1(VALU_DEP_2)
	s_or_b32 exec_lo, exec_lo, s0
	v_mul_f32_e32 v3, v21, v24
	s_mov_b32 s0, 0x43600000
	v_mov_b32_e32 v13, 0
	v_fmac_f32_e32 v3, v15, v14
	s_delay_alu instid0(VALU_DEP_1) | instskip(NEXT) | instid1(VALU_DEP_1)
	v_mul_f32_e32 v3, v18, v3
	v_minmax_f32 v14, v3, s0, 0xc3600000
	s_mov_b32 s0, exec_lo
	s_delay_alu instid0(VALU_DEP_1) | instskip(SKIP_1) | instid1(VALU_DEP_1)
	v_and_b32_e32 v12, 0x7f800000, v14
	v_lshrrev_b32_e32 v3, 24, v14
	v_or_b32_e32 v11, 0x7f, v3
	s_delay_alu instid0(VALU_DEP_3)
	v_cmpx_ne_u64_e32 0x7f800000, v[12:13]
	s_xor_b32 s4, exec_lo, s0
	s_cbranch_execz .LBB4_160
; %bb.151:
	v_and_b32_e32 v12, 0x7fffffff, v14
	s_mov_b32 s0, exec_lo
	s_delay_alu instid0(VALU_DEP_1)
	v_cmpx_gt_u64_e32 0x43700001, v[12:13]
	s_xor_b32 s5, exec_lo, s0
	s_cbranch_execz .LBB4_159
; %bb.152:
	s_mov_b32 s8, exec_lo
	v_mov_b32_e32 v11, 0
	v_mov_b32_e32 v12, 0
	v_cmpx_ne_u32_e32 0, v14
	s_cbranch_execz .LBB4_158
; %bb.153:
	v_bfe_u32 v28, v14, 23, 8
	v_dual_mov_b32 v12, 0 :: v_dual_and_b32 v13, 0x7fffff, v14
	s_delay_alu instid0(VALU_DEP_2) | instskip(SKIP_2) | instid1(VALU_DEP_3)
	v_sub_nc_u32_e64 v11, 0x78, v28 clamp
	v_cmp_eq_u32_e32 vcc_lo, 0, v28
	v_add_nc_u32_e32 v28, 0xffffff89, v28
	v_cndmask_b32_e64 v29, v11, 0x77, vcc_lo
	v_or_b32_e32 v11, 0x800000, v13
	s_delay_alu instid0(VALU_DEP_2) | instskip(NEXT) | instid1(VALU_DEP_2)
	v_add_nc_u32_e32 v14, 20, v29
	v_cndmask_b32_e32 v11, v11, v13, vcc_lo
	v_add_nc_u32_e32 v24, 19, v29
	s_delay_alu instid0(VALU_DEP_3) | instskip(SKIP_1) | instid1(VALU_DEP_4)
	v_lshlrev_b64 v[13:14], v14, -1
	v_mov_b32_e32 v14, v12
	v_lshrrev_b64 v[26:27], v29, v[11:12]
	s_delay_alu instid0(VALU_DEP_4) | instskip(NEXT) | instid1(VALU_DEP_4)
	v_lshlrev_b64 v[24:25], v24, 1
	v_not_b32_e32 v13, v13
	s_delay_alu instid0(VALU_DEP_1) | instskip(NEXT) | instid1(VALU_DEP_4)
	v_and_b32_e32 v13, v11, v13
	v_and_b32_e32 v11, 0x100000, v26
	s_delay_alu instid0(VALU_DEP_2) | instskip(NEXT) | instid1(VALU_DEP_2)
	v_cmp_eq_u64_e64 s0, v[13:14], v[24:25]
	v_cmp_eq_u64_e64 s1, 0, v[11:12]
	v_cndmask_b32_e64 v11, v28, 0xffffff8a, vcc_lo
	v_lshrrev_b32_e32 v13, 23, v26
	s_delay_alu instid0(VALU_DEP_3) | instskip(NEXT) | instid1(VALU_DEP_1)
	s_and_b32 vcc_lo, s1, s0
	v_add3_u32 v24, v11, v29, v13
	v_subrev_co_ci_u32_e32 v14, vcc_lo, 0, v26, vcc_lo
	s_mov_b32 s0, exec_lo
	s_delay_alu instid0(VALU_DEP_2) | instskip(NEXT) | instid1(VALU_DEP_2)
	v_add_nc_u32_e32 v25, -1, v24
	v_and_b32_e32 v11, 0xfffff, v14
	s_delay_alu instid0(VALU_DEP_1) | instskip(SKIP_1) | instid1(VALU_DEP_4)
	v_add_co_u32 v13, vcc_lo, v11, v26
	v_add_co_ci_u32_e32 v14, vcc_lo, 0, v27, vcc_lo
                                        ; implicit-def: $vgpr11
	v_cmpx_ne_u32_e32 0, v25
	s_xor_b32 s0, exec_lo, s0
; %bb.154:
	s_delay_alu instid0(VALU_DEP_3) | instskip(SKIP_1) | instid1(VALU_DEP_2)
	v_and_b32_e32 v11, 0x1000000, v13
	v_bfe_u32 v26, v13, 24, 1
	v_cmp_eq_u64_e32 vcc_lo, 0, v[11:12]
	s_delay_alu instid0(VALU_DEP_2)
	v_lshrrev_b64 v[13:14], v26, v[13:14]
	v_cndmask_b32_e32 v11, v24, v25, vcc_lo
; %bb.155:
	s_and_not1_saveexec_b32 s0, s0
; %bb.156:
	s_delay_alu instid0(VALU_DEP_2)
	v_bfe_u32 v11, v13, 23, 1
; %bb.157:
	s_or_b32 exec_lo, exec_lo, s0
	s_delay_alu instid0(VALU_DEP_3) | instskip(NEXT) | instid1(VALU_DEP_2)
	v_lshrrev_b64 v[12:13], 20, v[13:14]
	v_cmp_gt_i32_e32 vcc_lo, 16, v11
	v_and_b32_e32 v3, 0x80, v3
	v_min_i32_e32 v14, 15, v11
	v_cmp_eq_u32_e64 s0, 0, v11
	v_dual_cndmask_b32 v12, 7, v12 :: v_dual_cndmask_b32 v13, 0, v13
	s_delay_alu instid0(VALU_DEP_3) | instskip(NEXT) | instid1(VALU_DEP_2)
	v_lshl_or_b32 v3, v14, 3, v3
	v_cmp_eq_u64_e32 vcc_lo, 0, v[12:13]
	s_delay_alu instid0(VALU_DEP_2)
	v_and_or_b32 v3, v12, 7, v3
	s_and_b32 s0, s0, vcc_lo
	s_delay_alu instid0(VALU_DEP_1) | instid1(SALU_CYCLE_1)
	v_cndmask_b32_e64 v11, v3, 0, s0
.LBB4_158:
	s_or_b32 exec_lo, exec_lo, s8
.LBB4_159:
	s_and_not1_saveexec_b32 s0, s5
	s_delay_alu instid0(SALU_CYCLE_1)
	s_or_b32 exec_lo, exec_lo, s0
.LBB4_160:
	s_and_not1_saveexec_b32 s0, s4
	s_delay_alu instid0(SALU_CYCLE_1) | instskip(SKIP_2) | instid1(VALU_DEP_1)
	s_or_b32 exec_lo, exec_lo, s0
	v_dual_mul_f32 v3, v21, v23 :: v_dual_mov_b32 v14, 0
	s_mov_b32 s0, 0x43600000
	v_fmac_f32_e32 v3, v15, v22
	s_delay_alu instid0(VALU_DEP_1) | instskip(NEXT) | instid1(VALU_DEP_1)
	v_mul_f32_e32 v3, v18, v3
	v_minmax_f32 v15, v3, s0, 0xc3600000
	s_mov_b32 s0, exec_lo
	s_delay_alu instid0(VALU_DEP_1) | instskip(SKIP_1) | instid1(VALU_DEP_2)
	v_lshrrev_b32_e32 v3, 24, v15
	v_and_b32_e32 v13, 0x7f800000, v15
	v_or_b32_e32 v12, 0x7f, v3
	s_delay_alu instid0(VALU_DEP_2)
	v_cmpx_ne_u64_e32 0x7f800000, v[13:14]
	s_xor_b32 s4, exec_lo, s0
	s_cbranch_execz .LBB4_170
; %bb.161:
	v_and_b32_e32 v13, 0x7fffffff, v15
	s_mov_b32 s0, exec_lo
	s_delay_alu instid0(VALU_DEP_1)
	v_cmpx_gt_u64_e32 0x43700001, v[13:14]
	s_xor_b32 s5, exec_lo, s0
	s_cbranch_execz .LBB4_169
; %bb.162:
	s_mov_b32 s8, exec_lo
	v_mov_b32_e32 v12, 0
	v_mov_b32_e32 v13, 0
	v_cmpx_ne_u32_e32 0, v15
	s_cbranch_execz .LBB4_168
; %bb.163:
	v_bfe_u32 v18, v15, 23, 8
	v_dual_mov_b32 v13, 0 :: v_dual_and_b32 v14, 0x7fffff, v15
	s_delay_alu instid0(VALU_DEP_2) | instskip(SKIP_2) | instid1(VALU_DEP_3)
	v_sub_nc_u32_e64 v12, 0x78, v18 clamp
	v_cmp_eq_u32_e32 vcc_lo, 0, v18
	v_add_nc_u32_e32 v18, 0xffffff89, v18
	v_cndmask_b32_e64 v21, v12, 0x77, vcc_lo
	v_or_b32_e32 v12, 0x800000, v14
	s_delay_alu instid0(VALU_DEP_1) | instskip(SKIP_1) | instid1(VALU_DEP_2)
	v_dual_cndmask_b32 v12, v12, v14 :: v_dual_add_nc_u32 v15, 20, v21
	v_add_nc_u32_e32 v24, 19, v21
	v_lshlrev_b64 v[14:15], v15, -1
	v_mov_b32_e32 v15, v13
	s_delay_alu instid0(VALU_DEP_4) | instskip(NEXT) | instid1(VALU_DEP_4)
	v_lshrrev_b64 v[22:23], v21, v[12:13]
	v_lshlrev_b64 v[24:25], v24, 1
	s_delay_alu instid0(VALU_DEP_4) | instskip(NEXT) | instid1(VALU_DEP_1)
	v_not_b32_e32 v14, v14
	v_and_b32_e32 v14, v12, v14
	s_delay_alu instid0(VALU_DEP_4) | instskip(NEXT) | instid1(VALU_DEP_2)
	v_and_b32_e32 v12, 0x100000, v22
	v_cmp_eq_u64_e64 s0, v[14:15], v[24:25]
	s_delay_alu instid0(VALU_DEP_2) | instskip(SKIP_2) | instid1(VALU_DEP_3)
	v_cmp_eq_u64_e64 s1, 0, v[12:13]
	v_cndmask_b32_e64 v12, v18, 0xffffff8a, vcc_lo
	v_lshrrev_b32_e32 v14, 23, v22
	s_and_b32 vcc_lo, s1, s0
	s_delay_alu instid0(VALU_DEP_1) | instskip(SKIP_2) | instid1(VALU_DEP_2)
	v_add3_u32 v18, v12, v21, v14
	v_subrev_co_ci_u32_e32 v15, vcc_lo, 0, v22, vcc_lo
	s_mov_b32 s0, exec_lo
	v_add_nc_u32_e32 v21, -1, v18
	s_delay_alu instid0(VALU_DEP_2) | instskip(NEXT) | instid1(VALU_DEP_1)
	v_and_b32_e32 v12, 0xfffff, v15
	v_add_co_u32 v14, vcc_lo, v12, v22
	v_add_co_ci_u32_e32 v15, vcc_lo, 0, v23, vcc_lo
                                        ; implicit-def: $vgpr12
	s_delay_alu instid0(VALU_DEP_4)
	v_cmpx_ne_u32_e32 0, v21
	s_xor_b32 s0, exec_lo, s0
; %bb.164:
	s_delay_alu instid0(VALU_DEP_3) | instskip(SKIP_1) | instid1(VALU_DEP_2)
	v_and_b32_e32 v12, 0x1000000, v14
	v_bfe_u32 v22, v14, 24, 1
	v_cmp_eq_u64_e32 vcc_lo, 0, v[12:13]
	s_delay_alu instid0(VALU_DEP_2)
	v_lshrrev_b64 v[14:15], v22, v[14:15]
	v_cndmask_b32_e32 v12, v18, v21, vcc_lo
; %bb.165:
	s_and_not1_saveexec_b32 s0, s0
; %bb.166:
	s_delay_alu instid0(VALU_DEP_2)
	v_bfe_u32 v12, v14, 23, 1
; %bb.167:
	s_or_b32 exec_lo, exec_lo, s0
	s_delay_alu instid0(VALU_DEP_3) | instskip(NEXT) | instid1(VALU_DEP_2)
	v_lshrrev_b64 v[13:14], 20, v[14:15]
	v_cmp_gt_i32_e32 vcc_lo, 16, v12
	v_and_b32_e32 v3, 0x80, v3
	v_min_i32_e32 v15, 15, v12
	v_cmp_eq_u32_e64 s0, 0, v12
	v_dual_cndmask_b32 v14, 0, v14 :: v_dual_cndmask_b32 v13, 7, v13
	s_delay_alu instid0(VALU_DEP_3) | instskip(NEXT) | instid1(VALU_DEP_2)
	v_lshl_or_b32 v3, v15, 3, v3
	v_cmp_eq_u64_e32 vcc_lo, 0, v[13:14]
	s_delay_alu instid0(VALU_DEP_2)
	v_and_or_b32 v3, v13, 7, v3
	s_and_b32 s0, s0, vcc_lo
	s_delay_alu instid0(VALU_DEP_1) | instid1(SALU_CYCLE_1)
	v_cndmask_b32_e64 v12, v3, 0, s0
.LBB4_168:
	s_or_b32 exec_lo, exec_lo, s8
.LBB4_169:
	s_and_not1_saveexec_b32 s0, s5
	s_delay_alu instid0(SALU_CYCLE_1)
	s_or_b32 exec_lo, exec_lo, s0
.LBB4_170:
	s_and_not1_saveexec_b32 s0, s4
	s_delay_alu instid0(SALU_CYCLE_1)
	s_or_b32 exec_lo, exec_lo, s0
	v_lshlrev_b32_e32 v3, 16, v11
	v_lshlrev_b32_e32 v2, 16, v2
	v_lshlrev_b64 v[13:14], 3, v[4:5]
	v_lshlrev_b32_e32 v5, 24, v12
	v_lshlrev_b32_e32 v10, 8, v10
	v_and_b32_e32 v3, 0xff0000, v3
	v_lshlrev_b32_e32 v1, 8, v1
	v_perm_b32 v2, v8, v2, 0x4020c0c
	v_and_b32_e32 v8, 0xff, v9
	v_and_b32_e32 v9, 0xff00, v10
	v_or_b32_e32 v3, v5, v3
	v_and_b32_e32 v5, 0xff, v0
	v_and_or_b32 v2, 0xff00, v1, v2
	v_add_co_u32 v0, vcc_lo, v16, v13
	v_add_co_ci_u32_e32 v1, vcc_lo, v17, v14, vcc_lo
	v_or3_b32 v3, v3, v9, v8
	s_delay_alu instid0(VALU_DEP_4)
	v_or_b32_e32 v2, v2, v5
	global_store_b64 v[0:1], v[2:3], off
.LBB4_171:
	s_or_b32 exec_lo, exec_lo, s3
	v_cmp_eq_u32_e32 vcc_lo, 0, v4
	s_cmp_lg_u64 s[6:7], 0
	s_cselect_b32 s0, -1, 0
	s_delay_alu instid0(SALU_CYCLE_1) | instskip(NEXT) | instid1(SALU_CYCLE_1)
	s_and_b32 s0, s0, vcc_lo
	s_and_saveexec_b32 s1, s0
	s_cbranch_execz .LBB4_173
; %bb.172:
	v_cmp_gt_f32_e32 vcc_lo, 0x800000, v20
	v_cndmask_b32_e64 v0, 1.0, 0x4f800000, vcc_lo
	s_delay_alu instid0(VALU_DEP_1) | instskip(NEXT) | instid1(VALU_DEP_1)
	v_mul_f32_e32 v0, v20, v0
	v_log_f32_e32 v0, v0
	s_waitcnt_depctr 0xfff
	v_mul_f32_e32 v1, 0x3f317217, v0
	v_cmp_gt_f32_e64 s0, 0x7f800000, |v0|
	s_delay_alu instid0(VALU_DEP_2) | instskip(NEXT) | instid1(VALU_DEP_1)
	v_fma_f32 v2, 0x3f317217, v0, -v1
	v_fmamk_f32 v2, v0, 0x3377d1cf, v2
	s_delay_alu instid0(VALU_DEP_1) | instskip(NEXT) | instid1(VALU_DEP_1)
	v_add_f32_e32 v1, v1, v2
	v_cndmask_b32_e64 v0, v0, v1, s0
	v_cndmask_b32_e64 v1, 0, 0x41b17218, vcc_lo
	s_delay_alu instid0(VALU_DEP_1) | instskip(SKIP_2) | instid1(VALU_DEP_3)
	v_sub_f32_e32 v2, v0, v1
	v_add_co_u32 v0, vcc_lo, s6, v6
	v_add_co_ci_u32_e32 v1, vcc_lo, s7, v7, vcc_lo
	v_add_f32_e32 v2, v19, v2
	global_store_b32 v[0:1], v2, off
.LBB4_173:
	s_or_b32 exec_lo, exec_lo, s1
                                        ; implicit-def: $vgpr19
                                        ; implicit-def: $vgpr6_vgpr7
                                        ; implicit-def: $vgpr0
                                        ; implicit-def: $vgpr1
                                        ; implicit-def: $vgpr4
                                        ; implicit-def: $vgpr5
                                        ; implicit-def: $vgpr18
                                        ; implicit-def: $vgpr16
                                        ; implicit-def: $vgpr17
.LBB4_174:
	s_and_not1_saveexec_b32 s0, s2
	s_cbranch_execz .LBB4_259
; %bb.175:
	s_mov_b32 s2, exec_lo
	v_cmpx_gt_u32_e64 s18, v5
	s_cbranch_execz .LBB4_257
; %bb.176:
	v_mov_b32_e32 v5, 0
	s_mov_b32 s0, 0x43600000
	s_delay_alu instid0(VALU_DEP_1) | instskip(NEXT) | instid1(VALU_DEP_1)
	v_lshlrev_b64 v[2:3], 4, v[4:5]
	v_add_co_u32 v0, vcc_lo, v0, v2
	s_delay_alu instid0(VALU_DEP_2) | instskip(SKIP_4) | instid1(VALU_DEP_1)
	v_add_co_ci_u32_e32 v1, vcc_lo, v1, v3, vcc_lo
	global_load_b128 v[0:3], v[0:1], off
	s_waitcnt vmcnt(0)
	v_and_b32_e32 v8, 0xffff, v0
	;;#ASMSTART
	v_cvt_f32_f16 v8, v8;
	;;#ASMEND
	v_dual_mul_f32 v8, v18, v8 :: v_dual_mov_b32 v9, v5
	s_delay_alu instid0(VALU_DEP_1) | instskip(NEXT) | instid1(VALU_DEP_1)
	v_minmax_f32 v10, v8, s0, 0xc3600000
	v_and_b32_e32 v8, 0x7f800000, v10
	v_lshrrev_b32_e32 v12, 24, v10
	s_delay_alu instid0(VALU_DEP_2) | instskip(NEXT) | instid1(VALU_DEP_2)
	v_cmp_ne_u64_e32 vcc_lo, 0x7f800000, v[8:9]
	v_or_b32_e32 v8, 0x7f, v12
	s_and_saveexec_b32 s0, vcc_lo
	s_delay_alu instid0(SALU_CYCLE_1)
	s_xor_b32 s3, exec_lo, s0
	s_cbranch_execz .LBB4_186
; %bb.177:
	v_dual_mov_b32 v14, v5 :: v_dual_and_b32 v13, 0x7fffffff, v10
	s_mov_b32 s0, exec_lo
	s_delay_alu instid0(VALU_DEP_1)
	v_cmpx_gt_u64_e32 0x43700001, v[13:14]
	s_xor_b32 s4, exec_lo, s0
	s_cbranch_execz .LBB4_185
; %bb.178:
	s_mov_b32 s5, exec_lo
	v_mov_b32_e32 v8, 0
	v_mov_b32_e32 v9, 0
	v_cmpx_ne_u32_e32 0, v10
	s_cbranch_execz .LBB4_184
; %bb.179:
	v_bfe_u32 v15, v10, 23, 8
	v_dual_mov_b32 v9, 0 :: v_dual_and_b32 v10, 0x7fffff, v10
	s_delay_alu instid0(VALU_DEP_2) | instskip(SKIP_2) | instid1(VALU_DEP_3)
	v_sub_nc_u32_e64 v8, 0x78, v15 clamp
	v_cmp_eq_u32_e32 vcc_lo, 0, v15
	v_add_nc_u32_e32 v15, 0xffffff89, v15
	v_cndmask_b32_e64 v22, v8, 0x77, vcc_lo
	v_or_b32_e32 v8, 0x800000, v10
	s_delay_alu instid0(VALU_DEP_2) | instskip(NEXT) | instid1(VALU_DEP_2)
	v_add_nc_u32_e32 v11, 20, v22
	v_cndmask_b32_e32 v8, v8, v10, vcc_lo
	v_add_nc_u32_e32 v13, 19, v22
	s_delay_alu instid0(VALU_DEP_3) | instskip(SKIP_1) | instid1(VALU_DEP_4)
	v_lshlrev_b64 v[10:11], v11, -1
	v_mov_b32_e32 v11, v9
	v_lshrrev_b64 v[20:21], v22, v[8:9]
	s_delay_alu instid0(VALU_DEP_4) | instskip(NEXT) | instid1(VALU_DEP_4)
	v_lshlrev_b64 v[13:14], v13, 1
	v_not_b32_e32 v10, v10
	s_delay_alu instid0(VALU_DEP_1) | instskip(NEXT) | instid1(VALU_DEP_4)
	v_and_b32_e32 v10, v8, v10
	v_and_b32_e32 v8, 0x100000, v20
	s_delay_alu instid0(VALU_DEP_2) | instskip(NEXT) | instid1(VALU_DEP_2)
	v_cmp_eq_u64_e64 s0, v[10:11], v[13:14]
	v_cmp_eq_u64_e64 s1, 0, v[8:9]
	v_cndmask_b32_e64 v8, v15, 0xffffff8a, vcc_lo
	v_lshrrev_b32_e32 v10, 23, v20
	s_delay_alu instid0(VALU_DEP_3) | instskip(NEXT) | instid1(VALU_DEP_1)
	s_and_b32 vcc_lo, s1, s0
	v_add3_u32 v13, v8, v22, v10
	v_subrev_co_ci_u32_e32 v11, vcc_lo, 0, v20, vcc_lo
	s_mov_b32 s0, exec_lo
	s_delay_alu instid0(VALU_DEP_2) | instskip(NEXT) | instid1(VALU_DEP_2)
	v_add_nc_u32_e32 v14, -1, v13
	v_and_b32_e32 v8, 0xfffff, v11
	s_delay_alu instid0(VALU_DEP_1) | instskip(SKIP_1) | instid1(VALU_DEP_4)
	v_add_co_u32 v10, vcc_lo, v8, v20
	v_add_co_ci_u32_e32 v11, vcc_lo, 0, v21, vcc_lo
                                        ; implicit-def: $vgpr8
	v_cmpx_ne_u32_e32 0, v14
	s_xor_b32 s0, exec_lo, s0
; %bb.180:
	s_delay_alu instid0(VALU_DEP_3) | instskip(SKIP_1) | instid1(VALU_DEP_2)
	v_and_b32_e32 v8, 0x1000000, v10
	v_bfe_u32 v15, v10, 24, 1
	v_cmp_eq_u64_e32 vcc_lo, 0, v[8:9]
	s_delay_alu instid0(VALU_DEP_2)
	v_lshrrev_b64 v[10:11], v15, v[10:11]
	v_cndmask_b32_e32 v8, v13, v14, vcc_lo
; %bb.181:
	s_and_not1_saveexec_b32 s0, s0
; %bb.182:
	s_delay_alu instid0(VALU_DEP_2)
	v_bfe_u32 v8, v10, 23, 1
; %bb.183:
	s_or_b32 exec_lo, exec_lo, s0
	s_delay_alu instid0(VALU_DEP_3) | instskip(NEXT) | instid1(VALU_DEP_2)
	v_lshrrev_b64 v[9:10], 20, v[10:11]
	v_cmp_gt_i32_e32 vcc_lo, 16, v8
	v_and_b32_e32 v11, 0x80, v12
	v_min_i32_e32 v12, 15, v8
	v_cmp_eq_u32_e64 s0, 0, v8
	v_dual_cndmask_b32 v10, 0, v10 :: v_dual_cndmask_b32 v9, 7, v9
	s_delay_alu instid0(VALU_DEP_3) | instskip(NEXT) | instid1(VALU_DEP_2)
	v_lshl_or_b32 v11, v12, 3, v11
	v_cmp_eq_u64_e32 vcc_lo, 0, v[9:10]
	s_delay_alu instid0(VALU_DEP_2)
	v_and_or_b32 v8, v9, 7, v11
	s_and_b32 s0, s0, vcc_lo
	s_delay_alu instid0(VALU_DEP_1) | instid1(SALU_CYCLE_1)
	v_cndmask_b32_e64 v8, v8, 0, s0
.LBB4_184:
	s_or_b32 exec_lo, exec_lo, s5
.LBB4_185:
	s_and_not1_saveexec_b32 s0, s4
	s_delay_alu instid0(SALU_CYCLE_1)
	s_or_b32 exec_lo, exec_lo, s0
.LBB4_186:
	s_and_not1_saveexec_b32 s0, s3
	s_delay_alu instid0(SALU_CYCLE_1) | instskip(SKIP_2) | instid1(VALU_DEP_1)
	s_or_b32 exec_lo, exec_lo, s0
	v_lshrrev_b32_e32 v0, 16, v0
	;;#ASMSTART
	v_cvt_f32_f16 v0, v0;
	;;#ASMEND
	v_dual_mul_f32 v0, v18, v0 :: v_dual_mov_b32 v11, 0
	s_mov_b32 s0, 0x43600000
	s_delay_alu instid0(VALU_DEP_1) | instid1(SALU_CYCLE_1)
	v_minmax_f32 v12, v0, s0, 0xc3600000
	s_mov_b32 s0, exec_lo
	s_delay_alu instid0(VALU_DEP_1) | instskip(SKIP_1) | instid1(VALU_DEP_2)
	v_lshrrev_b32_e32 v0, 24, v12
	v_and_b32_e32 v10, 0x7f800000, v12
	v_or_b32_e32 v9, 0x7f, v0
	s_delay_alu instid0(VALU_DEP_2)
	v_cmpx_ne_u64_e32 0x7f800000, v[10:11]
	s_xor_b32 s3, exec_lo, s0
	s_cbranch_execz .LBB4_196
; %bb.187:
	v_and_b32_e32 v10, 0x7fffffff, v12
	s_mov_b32 s0, exec_lo
	s_delay_alu instid0(VALU_DEP_1)
	v_cmpx_gt_u64_e32 0x43700001, v[10:11]
	s_xor_b32 s4, exec_lo, s0
	s_cbranch_execz .LBB4_195
; %bb.188:
	s_mov_b32 s5, exec_lo
	v_mov_b32_e32 v9, 0
	v_mov_b32_e32 v10, 0
	v_cmpx_ne_u32_e32 0, v12
	s_cbranch_execz .LBB4_194
; %bb.189:
	v_bfe_u32 v15, v12, 23, 8
	v_dual_mov_b32 v10, 0 :: v_dual_and_b32 v11, 0x7fffff, v12
	s_delay_alu instid0(VALU_DEP_2) | instskip(SKIP_2) | instid1(VALU_DEP_3)
	v_sub_nc_u32_e64 v9, 0x78, v15 clamp
	v_cmp_eq_u32_e32 vcc_lo, 0, v15
	v_add_nc_u32_e32 v15, 0xffffff89, v15
	v_cndmask_b32_e64 v22, v9, 0x77, vcc_lo
	v_or_b32_e32 v9, 0x800000, v11
	s_delay_alu instid0(VALU_DEP_1) | instskip(SKIP_1) | instid1(VALU_DEP_2)
	v_dual_cndmask_b32 v9, v9, v11 :: v_dual_add_nc_u32 v12, 20, v22
	v_add_nc_u32_e32 v13, 19, v22
	v_lshlrev_b64 v[11:12], v12, -1
	v_mov_b32_e32 v12, v10
	s_delay_alu instid0(VALU_DEP_4) | instskip(NEXT) | instid1(VALU_DEP_4)
	v_lshrrev_b64 v[20:21], v22, v[9:10]
	v_lshlrev_b64 v[13:14], v13, 1
	s_delay_alu instid0(VALU_DEP_4) | instskip(NEXT) | instid1(VALU_DEP_1)
	v_not_b32_e32 v11, v11
	v_and_b32_e32 v11, v9, v11
	s_delay_alu instid0(VALU_DEP_4) | instskip(NEXT) | instid1(VALU_DEP_2)
	v_and_b32_e32 v9, 0x100000, v20
	v_cmp_eq_u64_e64 s0, v[11:12], v[13:14]
	s_delay_alu instid0(VALU_DEP_2) | instskip(SKIP_2) | instid1(VALU_DEP_3)
	v_cmp_eq_u64_e64 s1, 0, v[9:10]
	v_cndmask_b32_e64 v9, v15, 0xffffff8a, vcc_lo
	v_lshrrev_b32_e32 v11, 23, v20
	s_and_b32 vcc_lo, s1, s0
	s_delay_alu instid0(VALU_DEP_1) | instskip(SKIP_2) | instid1(VALU_DEP_2)
	v_add3_u32 v13, v9, v22, v11
	v_subrev_co_ci_u32_e32 v12, vcc_lo, 0, v20, vcc_lo
	s_mov_b32 s0, exec_lo
	v_add_nc_u32_e32 v14, -1, v13
	s_delay_alu instid0(VALU_DEP_2) | instskip(NEXT) | instid1(VALU_DEP_1)
	v_and_b32_e32 v9, 0xfffff, v12
	v_add_co_u32 v11, vcc_lo, v9, v20
	v_add_co_ci_u32_e32 v12, vcc_lo, 0, v21, vcc_lo
                                        ; implicit-def: $vgpr9
	s_delay_alu instid0(VALU_DEP_4)
	v_cmpx_ne_u32_e32 0, v14
	s_xor_b32 s0, exec_lo, s0
; %bb.190:
	s_delay_alu instid0(VALU_DEP_3) | instskip(SKIP_1) | instid1(VALU_DEP_2)
	v_and_b32_e32 v9, 0x1000000, v11
	v_bfe_u32 v15, v11, 24, 1
	v_cmp_eq_u64_e32 vcc_lo, 0, v[9:10]
	s_delay_alu instid0(VALU_DEP_2)
	v_lshrrev_b64 v[11:12], v15, v[11:12]
	v_cndmask_b32_e32 v9, v13, v14, vcc_lo
; %bb.191:
	s_and_not1_saveexec_b32 s0, s0
; %bb.192:
	s_delay_alu instid0(VALU_DEP_2)
	v_bfe_u32 v9, v11, 23, 1
; %bb.193:
	s_or_b32 exec_lo, exec_lo, s0
	s_delay_alu instid0(VALU_DEP_3) | instskip(NEXT) | instid1(VALU_DEP_2)
	v_lshrrev_b64 v[10:11], 20, v[11:12]
	v_cmp_gt_i32_e32 vcc_lo, 16, v9
	v_and_b32_e32 v0, 0x80, v0
	v_min_i32_e32 v12, 15, v9
	v_cmp_eq_u32_e64 s0, 0, v9
	v_dual_cndmask_b32 v11, 0, v11 :: v_dual_cndmask_b32 v10, 7, v10
	s_delay_alu instid0(VALU_DEP_3) | instskip(NEXT) | instid1(VALU_DEP_2)
	v_lshl_or_b32 v0, v12, 3, v0
	v_cmp_eq_u64_e32 vcc_lo, 0, v[10:11]
	s_delay_alu instid0(VALU_DEP_2)
	v_and_or_b32 v0, v10, 7, v0
	s_and_b32 s0, s0, vcc_lo
	s_delay_alu instid0(VALU_DEP_1) | instid1(SALU_CYCLE_1)
	v_cndmask_b32_e64 v9, v0, 0, s0
.LBB4_194:
	s_or_b32 exec_lo, exec_lo, s5
.LBB4_195:
	s_and_not1_saveexec_b32 s0, s4
	s_delay_alu instid0(SALU_CYCLE_1)
	s_or_b32 exec_lo, exec_lo, s0
.LBB4_196:
	s_and_not1_saveexec_b32 s0, s3
	s_delay_alu instid0(SALU_CYCLE_1) | instskip(SKIP_2) | instid1(VALU_DEP_1)
	s_or_b32 exec_lo, exec_lo, s0
	v_and_b32_e32 v0, 0xffff, v1
	;;#ASMSTART
	v_cvt_f32_f16 v0, v0;
	;;#ASMEND
	v_mul_f32_e32 v0, v18, v0
	s_mov_b32 s0, 0x43600000
	v_mov_b32_e32 v12, 0
	s_delay_alu instid0(VALU_DEP_2) | instskip(SKIP_1) | instid1(VALU_DEP_1)
	v_minmax_f32 v13, v0, s0, 0xc3600000
	s_mov_b32 s0, exec_lo
	v_and_b32_e32 v11, 0x7f800000, v13
	v_lshrrev_b32_e32 v0, 24, v13
	s_delay_alu instid0(VALU_DEP_1) | instskip(NEXT) | instid1(VALU_DEP_3)
	v_or_b32_e32 v10, 0x7f, v0
	v_cmpx_ne_u64_e32 0x7f800000, v[11:12]
	s_xor_b32 s3, exec_lo, s0
	s_cbranch_execz .LBB4_206
; %bb.197:
	v_and_b32_e32 v11, 0x7fffffff, v13
	s_mov_b32 s0, exec_lo
	s_delay_alu instid0(VALU_DEP_1)
	v_cmpx_gt_u64_e32 0x43700001, v[11:12]
	s_xor_b32 s4, exec_lo, s0
	s_cbranch_execz .LBB4_205
; %bb.198:
	s_mov_b32 s5, exec_lo
	v_mov_b32_e32 v10, 0
	v_mov_b32_e32 v11, 0
	v_cmpx_ne_u32_e32 0, v13
	s_cbranch_execz .LBB4_204
; %bb.199:
	v_bfe_u32 v22, v13, 23, 8
	v_dual_mov_b32 v11, 0 :: v_dual_and_b32 v12, 0x7fffff, v13
	s_delay_alu instid0(VALU_DEP_2) | instskip(SKIP_2) | instid1(VALU_DEP_3)
	v_sub_nc_u32_e64 v10, 0x78, v22 clamp
	v_cmp_eq_u32_e32 vcc_lo, 0, v22
	v_add_nc_u32_e32 v22, 0xffffff89, v22
	v_cndmask_b32_e64 v23, v10, 0x77, vcc_lo
	v_or_b32_e32 v10, 0x800000, v12
	s_delay_alu instid0(VALU_DEP_1) | instskip(SKIP_1) | instid1(VALU_DEP_2)
	v_dual_cndmask_b32 v10, v10, v12 :: v_dual_add_nc_u32 v13, 20, v23
	v_add_nc_u32_e32 v14, 19, v23
	v_lshlrev_b64 v[12:13], v13, -1
	v_mov_b32_e32 v13, v11
	s_delay_alu instid0(VALU_DEP_4) | instskip(NEXT) | instid1(VALU_DEP_4)
	v_lshrrev_b64 v[20:21], v23, v[10:11]
	v_lshlrev_b64 v[14:15], v14, 1
	s_delay_alu instid0(VALU_DEP_4) | instskip(NEXT) | instid1(VALU_DEP_1)
	v_not_b32_e32 v12, v12
	v_and_b32_e32 v12, v10, v12
	s_delay_alu instid0(VALU_DEP_4) | instskip(NEXT) | instid1(VALU_DEP_2)
	v_and_b32_e32 v10, 0x100000, v20
	v_cmp_eq_u64_e64 s0, v[12:13], v[14:15]
	s_delay_alu instid0(VALU_DEP_2) | instskip(SKIP_2) | instid1(VALU_DEP_3)
	v_cmp_eq_u64_e64 s1, 0, v[10:11]
	v_cndmask_b32_e64 v10, v22, 0xffffff8a, vcc_lo
	v_lshrrev_b32_e32 v12, 23, v20
	s_and_b32 vcc_lo, s1, s0
	s_delay_alu instid0(VALU_DEP_1) | instskip(SKIP_2) | instid1(VALU_DEP_2)
	v_add3_u32 v14, v10, v23, v12
	v_subrev_co_ci_u32_e32 v13, vcc_lo, 0, v20, vcc_lo
	s_mov_b32 s0, exec_lo
	v_add_nc_u32_e32 v15, -1, v14
	s_delay_alu instid0(VALU_DEP_2) | instskip(NEXT) | instid1(VALU_DEP_1)
	v_and_b32_e32 v10, 0xfffff, v13
	v_add_co_u32 v12, vcc_lo, v10, v20
	v_add_co_ci_u32_e32 v13, vcc_lo, 0, v21, vcc_lo
                                        ; implicit-def: $vgpr10
	s_delay_alu instid0(VALU_DEP_4)
	v_cmpx_ne_u32_e32 0, v15
	s_xor_b32 s0, exec_lo, s0
; %bb.200:
	s_delay_alu instid0(VALU_DEP_3) | instskip(SKIP_1) | instid1(VALU_DEP_2)
	v_and_b32_e32 v10, 0x1000000, v12
	v_bfe_u32 v20, v12, 24, 1
	v_cmp_eq_u64_e32 vcc_lo, 0, v[10:11]
	s_delay_alu instid0(VALU_DEP_2)
	v_lshrrev_b64 v[12:13], v20, v[12:13]
	v_cndmask_b32_e32 v10, v14, v15, vcc_lo
; %bb.201:
	s_and_not1_saveexec_b32 s0, s0
; %bb.202:
	s_delay_alu instid0(VALU_DEP_2)
	v_bfe_u32 v10, v12, 23, 1
; %bb.203:
	s_or_b32 exec_lo, exec_lo, s0
	s_delay_alu instid0(VALU_DEP_3) | instskip(NEXT) | instid1(VALU_DEP_2)
	v_lshrrev_b64 v[11:12], 20, v[12:13]
	v_cmp_gt_i32_e32 vcc_lo, 16, v10
	v_and_b32_e32 v0, 0x80, v0
	v_min_i32_e32 v13, 15, v10
	v_cmp_eq_u32_e64 s0, 0, v10
	v_dual_cndmask_b32 v11, 7, v11 :: v_dual_cndmask_b32 v12, 0, v12
	s_delay_alu instid0(VALU_DEP_3) | instskip(NEXT) | instid1(VALU_DEP_2)
	v_lshl_or_b32 v0, v13, 3, v0
	v_cmp_eq_u64_e32 vcc_lo, 0, v[11:12]
	s_delay_alu instid0(VALU_DEP_2)
	v_and_or_b32 v0, v11, 7, v0
	s_and_b32 s0, s0, vcc_lo
	s_delay_alu instid0(VALU_DEP_1) | instid1(SALU_CYCLE_1)
	v_cndmask_b32_e64 v10, v0, 0, s0
.LBB4_204:
	s_or_b32 exec_lo, exec_lo, s5
.LBB4_205:
	s_and_not1_saveexec_b32 s0, s4
	s_delay_alu instid0(SALU_CYCLE_1)
	s_or_b32 exec_lo, exec_lo, s0
.LBB4_206:
	s_and_not1_saveexec_b32 s0, s3
	s_delay_alu instid0(SALU_CYCLE_1) | instskip(SKIP_2) | instid1(VALU_DEP_1)
	s_or_b32 exec_lo, exec_lo, s0
	v_lshrrev_b32_e32 v0, 16, v1
	;;#ASMSTART
	v_cvt_f32_f16 v0, v0;
	;;#ASMEND
	v_mul_f32_e32 v0, v18, v0
	s_mov_b32 s0, 0x43600000
	v_mov_b32_e32 v12, 0
	s_delay_alu instid0(VALU_DEP_2) | instskip(SKIP_1) | instid1(VALU_DEP_1)
	v_minmax_f32 v14, v0, s0, 0xc3600000
	s_mov_b32 s0, exec_lo
	v_and_b32_e32 v11, 0x7f800000, v14
	v_lshrrev_b32_e32 v13, 24, v14
	s_delay_alu instid0(VALU_DEP_1) | instskip(NEXT) | instid1(VALU_DEP_3)
	v_or_b32_e32 v0, 0x7f, v13
	v_cmpx_ne_u64_e32 0x7f800000, v[11:12]
	s_xor_b32 s3, exec_lo, s0
	s_cbranch_execz .LBB4_216
; %bb.207:
	v_and_b32_e32 v11, 0x7fffffff, v14
	s_mov_b32 s0, exec_lo
	s_delay_alu instid0(VALU_DEP_1)
	v_cmpx_gt_u64_e32 0x43700001, v[11:12]
	s_xor_b32 s4, exec_lo, s0
	s_cbranch_execz .LBB4_215
; %bb.208:
	s_mov_b32 s5, exec_lo
	v_mov_b32_e32 v0, 0
	v_mov_b32_e32 v1, 0
	v_cmpx_ne_u32_e32 0, v14
	s_cbranch_execz .LBB4_214
; %bb.209:
	v_bfe_u32 v22, v14, 23, 8
	v_mov_b32_e32 v1, 0
	v_and_b32_e32 v11, 0x7fffff, v14
	s_delay_alu instid0(VALU_DEP_3) | instskip(SKIP_2) | instid1(VALU_DEP_3)
	v_sub_nc_u32_e64 v0, 0x78, v22 clamp
	v_cmp_eq_u32_e32 vcc_lo, 0, v22
	v_add_nc_u32_e32 v22, 0xffffff89, v22
	v_cndmask_b32_e64 v23, v0, 0x77, vcc_lo
	v_or_b32_e32 v0, 0x800000, v11
	s_delay_alu instid0(VALU_DEP_2) | instskip(SKIP_1) | instid1(VALU_DEP_3)
	v_add_nc_u32_e32 v12, 20, v23
	v_add_nc_u32_e32 v14, 19, v23
	v_cndmask_b32_e32 v0, v0, v11, vcc_lo
	s_delay_alu instid0(VALU_DEP_3) | instskip(NEXT) | instid1(VALU_DEP_3)
	v_lshlrev_b64 v[11:12], v12, -1
	v_lshlrev_b64 v[14:15], v14, 1
	v_mov_b32_e32 v12, v1
	s_delay_alu instid0(VALU_DEP_4) | instskip(NEXT) | instid1(VALU_DEP_4)
	v_lshrrev_b64 v[20:21], v23, v[0:1]
	v_not_b32_e32 v11, v11
	s_delay_alu instid0(VALU_DEP_1) | instskip(NEXT) | instid1(VALU_DEP_3)
	v_and_b32_e32 v11, v0, v11
	v_and_b32_e32 v0, 0x100000, v20
	s_delay_alu instid0(VALU_DEP_2) | instskip(NEXT) | instid1(VALU_DEP_2)
	v_cmp_eq_u64_e64 s0, v[11:12], v[14:15]
	v_cmp_eq_u64_e64 s1, 0, v[0:1]
	v_cndmask_b32_e64 v0, v22, 0xffffff8a, vcc_lo
	v_lshrrev_b32_e32 v11, 23, v20
	s_delay_alu instid0(VALU_DEP_3) | instskip(NEXT) | instid1(VALU_DEP_1)
	s_and_b32 vcc_lo, s1, s0
	v_add3_u32 v14, v0, v23, v11
	s_mov_b32 s0, exec_lo
	v_subrev_co_ci_u32_e32 v12, vcc_lo, 0, v20, vcc_lo
	s_delay_alu instid0(VALU_DEP_2) | instskip(NEXT) | instid1(VALU_DEP_2)
	v_add_nc_u32_e32 v15, -1, v14
	v_and_b32_e32 v0, 0xfffff, v12
	s_delay_alu instid0(VALU_DEP_1) | instskip(SKIP_1) | instid1(VALU_DEP_4)
	v_add_co_u32 v11, vcc_lo, v0, v20
                                        ; implicit-def: $vgpr0
	v_add_co_ci_u32_e32 v12, vcc_lo, 0, v21, vcc_lo
	v_cmpx_ne_u32_e32 0, v15
	s_xor_b32 s0, exec_lo, s0
; %bb.210:
	s_delay_alu instid0(VALU_DEP_3) | instskip(SKIP_1) | instid1(VALU_DEP_2)
	v_and_b32_e32 v0, 0x1000000, v11
	v_bfe_u32 v20, v11, 24, 1
	v_cmp_eq_u64_e32 vcc_lo, 0, v[0:1]
	s_delay_alu instid0(VALU_DEP_2)
	v_lshrrev_b64 v[11:12], v20, v[11:12]
	v_cndmask_b32_e32 v0, v14, v15, vcc_lo
; %bb.211:
	s_and_not1_saveexec_b32 s0, s0
; %bb.212:
	s_delay_alu instid0(VALU_DEP_2)
	v_bfe_u32 v0, v11, 23, 1
; %bb.213:
	s_or_b32 exec_lo, exec_lo, s0
	s_delay_alu instid0(VALU_DEP_3) | instskip(NEXT) | instid1(VALU_DEP_2)
	v_lshrrev_b64 v[11:12], 20, v[11:12]
	v_cmp_gt_i32_e32 vcc_lo, 16, v0
	v_and_b32_e32 v1, 0x80, v13
	v_min_i32_e32 v13, 15, v0
	v_cmp_eq_u32_e64 s0, 0, v0
	v_dual_cndmask_b32 v12, 0, v12 :: v_dual_cndmask_b32 v11, 7, v11
	s_delay_alu instid0(VALU_DEP_3) | instskip(NEXT) | instid1(VALU_DEP_2)
	v_lshl_or_b32 v1, v13, 3, v1
	v_cmp_eq_u64_e32 vcc_lo, 0, v[11:12]
	s_delay_alu instid0(VALU_DEP_2)
	v_and_or_b32 v0, v11, 7, v1
	s_and_b32 s0, s0, vcc_lo
	s_delay_alu instid0(VALU_DEP_1) | instid1(SALU_CYCLE_1)
	v_cndmask_b32_e64 v0, v0, 0, s0
.LBB4_214:
	s_or_b32 exec_lo, exec_lo, s5
.LBB4_215:
	s_and_not1_saveexec_b32 s0, s4
	s_delay_alu instid0(SALU_CYCLE_1)
	s_or_b32 exec_lo, exec_lo, s0
.LBB4_216:
	s_and_not1_saveexec_b32 s0, s3
	s_delay_alu instid0(SALU_CYCLE_1) | instskip(SKIP_2) | instid1(VALU_DEP_1)
	s_or_b32 exec_lo, exec_lo, s0
	v_and_b32_e32 v1, 0xffff, v2
	;;#ASMSTART
	v_cvt_f32_f16 v1, v1;
	;;#ASMEND
	v_mul_f32_e32 v1, v18, v1
	s_mov_b32 s0, 0x43600000
	v_mov_b32_e32 v13, 0
	s_delay_alu instid0(VALU_DEP_2) | instskip(SKIP_1) | instid1(VALU_DEP_1)
	v_minmax_f32 v14, v1, s0, 0xc3600000
	s_mov_b32 s0, exec_lo
	v_and_b32_e32 v12, 0x7f800000, v14
	v_lshrrev_b32_e32 v1, 24, v14
	s_delay_alu instid0(VALU_DEP_1) | instskip(NEXT) | instid1(VALU_DEP_3)
	v_or_b32_e32 v11, 0x7f, v1
	v_cmpx_ne_u64_e32 0x7f800000, v[12:13]
	s_xor_b32 s3, exec_lo, s0
	s_cbranch_execz .LBB4_226
; %bb.217:
	v_and_b32_e32 v12, 0x7fffffff, v14
	s_mov_b32 s0, exec_lo
	s_delay_alu instid0(VALU_DEP_1)
	v_cmpx_gt_u64_e32 0x43700001, v[12:13]
	s_xor_b32 s4, exec_lo, s0
	s_cbranch_execz .LBB4_225
; %bb.218:
	s_mov_b32 s5, exec_lo
	v_mov_b32_e32 v11, 0
	v_mov_b32_e32 v12, 0
	v_cmpx_ne_u32_e32 0, v14
	s_cbranch_execz .LBB4_224
; %bb.219:
	v_bfe_u32 v15, v14, 23, 8
	v_dual_mov_b32 v12, 0 :: v_dual_and_b32 v13, 0x7fffff, v14
	s_delay_alu instid0(VALU_DEP_2) | instskip(SKIP_2) | instid1(VALU_DEP_3)
	v_sub_nc_u32_e64 v11, 0x78, v15 clamp
	v_cmp_eq_u32_e32 vcc_lo, 0, v15
	v_add_nc_u32_e32 v15, 0xffffff89, v15
	v_cndmask_b32_e64 v20, v11, 0x77, vcc_lo
	v_or_b32_e32 v11, 0x800000, v13
	s_delay_alu instid0(VALU_DEP_1) | instskip(SKIP_1) | instid1(VALU_DEP_2)
	v_dual_cndmask_b32 v11, v11, v13 :: v_dual_add_nc_u32 v14, 20, v20
	v_add_nc_u32_e32 v23, 19, v20
	v_lshlrev_b64 v[13:14], v14, -1
	v_mov_b32_e32 v14, v12
	s_delay_alu instid0(VALU_DEP_4) | instskip(NEXT) | instid1(VALU_DEP_4)
	v_lshrrev_b64 v[21:22], v20, v[11:12]
	v_lshlrev_b64 v[23:24], v23, 1
	s_delay_alu instid0(VALU_DEP_4) | instskip(NEXT) | instid1(VALU_DEP_1)
	v_not_b32_e32 v13, v13
	v_and_b32_e32 v13, v11, v13
	s_delay_alu instid0(VALU_DEP_4) | instskip(NEXT) | instid1(VALU_DEP_2)
	v_and_b32_e32 v11, 0x100000, v21
	v_cmp_eq_u64_e64 s0, v[13:14], v[23:24]
	s_delay_alu instid0(VALU_DEP_2) | instskip(SKIP_2) | instid1(VALU_DEP_3)
	v_cmp_eq_u64_e64 s1, 0, v[11:12]
	v_cndmask_b32_e64 v11, v15, 0xffffff8a, vcc_lo
	v_lshrrev_b32_e32 v13, 23, v21
	s_and_b32 vcc_lo, s1, s0
	s_delay_alu instid0(VALU_DEP_1) | instskip(SKIP_2) | instid1(VALU_DEP_2)
	v_add3_u32 v15, v11, v20, v13
	v_subrev_co_ci_u32_e32 v14, vcc_lo, 0, v21, vcc_lo
	s_mov_b32 s0, exec_lo
	v_add_nc_u32_e32 v20, -1, v15
	s_delay_alu instid0(VALU_DEP_2) | instskip(NEXT) | instid1(VALU_DEP_1)
	v_and_b32_e32 v11, 0xfffff, v14
	v_add_co_u32 v13, vcc_lo, v11, v21
	v_add_co_ci_u32_e32 v14, vcc_lo, 0, v22, vcc_lo
                                        ; implicit-def: $vgpr11
	s_delay_alu instid0(VALU_DEP_4)
	v_cmpx_ne_u32_e32 0, v20
	s_xor_b32 s0, exec_lo, s0
; %bb.220:
	s_delay_alu instid0(VALU_DEP_3) | instskip(SKIP_1) | instid1(VALU_DEP_2)
	v_and_b32_e32 v11, 0x1000000, v13
	v_bfe_u32 v21, v13, 24, 1
	v_cmp_eq_u64_e32 vcc_lo, 0, v[11:12]
	s_delay_alu instid0(VALU_DEP_2)
	v_lshrrev_b64 v[13:14], v21, v[13:14]
	v_cndmask_b32_e32 v11, v15, v20, vcc_lo
; %bb.221:
	s_and_not1_saveexec_b32 s0, s0
; %bb.222:
	s_delay_alu instid0(VALU_DEP_2)
	v_bfe_u32 v11, v13, 23, 1
; %bb.223:
	s_or_b32 exec_lo, exec_lo, s0
	s_delay_alu instid0(VALU_DEP_3) | instskip(NEXT) | instid1(VALU_DEP_2)
	v_lshrrev_b64 v[12:13], 20, v[13:14]
	v_cmp_gt_i32_e32 vcc_lo, 16, v11
	v_and_b32_e32 v1, 0x80, v1
	v_min_i32_e32 v14, 15, v11
	v_cmp_eq_u32_e64 s0, 0, v11
	v_dual_cndmask_b32 v12, 7, v12 :: v_dual_cndmask_b32 v13, 0, v13
	s_delay_alu instid0(VALU_DEP_3) | instskip(NEXT) | instid1(VALU_DEP_2)
	v_lshl_or_b32 v1, v14, 3, v1
	v_cmp_eq_u64_e32 vcc_lo, 0, v[12:13]
	s_delay_alu instid0(VALU_DEP_2)
	v_and_or_b32 v1, v12, 7, v1
	s_and_b32 s0, s0, vcc_lo
	s_delay_alu instid0(VALU_DEP_1) | instid1(SALU_CYCLE_1)
	v_cndmask_b32_e64 v11, v1, 0, s0
.LBB4_224:
	s_or_b32 exec_lo, exec_lo, s5
.LBB4_225:
	s_and_not1_saveexec_b32 s0, s4
	s_delay_alu instid0(SALU_CYCLE_1)
	s_or_b32 exec_lo, exec_lo, s0
.LBB4_226:
	s_and_not1_saveexec_b32 s0, s3
	s_delay_alu instid0(SALU_CYCLE_1) | instskip(SKIP_2) | instid1(VALU_DEP_1)
	s_or_b32 exec_lo, exec_lo, s0
	v_lshrrev_b32_e32 v1, 16, v2
	;;#ASMSTART
	v_cvt_f32_f16 v1, v1;
	;;#ASMEND
	v_mul_f32_e32 v1, v18, v1
	s_mov_b32 s0, 0x43600000
	v_mov_b32_e32 v13, 0
	s_delay_alu instid0(VALU_DEP_2) | instskip(SKIP_1) | instid1(VALU_DEP_1)
	v_minmax_f32 v15, v1, s0, 0xc3600000
	s_mov_b32 s0, exec_lo
	v_and_b32_e32 v12, 0x7f800000, v15
	v_lshrrev_b32_e32 v14, 24, v15
	s_delay_alu instid0(VALU_DEP_1) | instskip(NEXT) | instid1(VALU_DEP_3)
	v_or_b32_e32 v1, 0x7f, v14
	v_cmpx_ne_u64_e32 0x7f800000, v[12:13]
	s_xor_b32 s3, exec_lo, s0
	s_cbranch_execz .LBB4_236
; %bb.227:
	v_and_b32_e32 v12, 0x7fffffff, v15
	s_mov_b32 s0, exec_lo
	s_delay_alu instid0(VALU_DEP_1)
	v_cmpx_gt_u64_e32 0x43700001, v[12:13]
	s_xor_b32 s4, exec_lo, s0
	s_cbranch_execz .LBB4_235
; %bb.228:
	s_mov_b32 s5, exec_lo
	v_mov_b32_e32 v1, 0
	v_mov_b32_e32 v2, 0
	v_cmpx_ne_u32_e32 0, v15
	s_cbranch_execz .LBB4_234
; %bb.229:
	v_bfe_u32 v20, v15, 23, 8
	s_delay_alu instid0(VALU_DEP_1)
	v_sub_nc_u32_e64 v1, 0x78, v20 clamp
	v_cmp_eq_u32_e32 vcc_lo, 0, v20
	v_mov_b32_e32 v2, 0
	v_and_b32_e32 v12, 0x7fffff, v15
	v_add_nc_u32_e32 v20, 0xffffff89, v20
	v_cndmask_b32_e64 v15, v1, 0x77, vcc_lo
	s_delay_alu instid0(VALU_DEP_3) | instskip(NEXT) | instid1(VALU_DEP_2)
	v_or_b32_e32 v1, 0x800000, v12
	v_add_nc_u32_e32 v13, 20, v15
	v_add_nc_u32_e32 v23, 19, v15
	s_delay_alu instid0(VALU_DEP_3) | instskip(NEXT) | instid1(VALU_DEP_3)
	v_cndmask_b32_e32 v1, v1, v12, vcc_lo
	v_lshlrev_b64 v[12:13], v13, -1
	v_mov_b32_e32 v13, v2
	s_delay_alu instid0(VALU_DEP_3) | instskip(SKIP_1) | instid1(VALU_DEP_4)
	v_lshrrev_b64 v[21:22], v15, v[1:2]
	v_lshlrev_b64 v[23:24], v23, 1
	v_not_b32_e32 v12, v12
	s_delay_alu instid0(VALU_DEP_1) | instskip(NEXT) | instid1(VALU_DEP_4)
	v_and_b32_e32 v12, v1, v12
	v_and_b32_e32 v1, 0x100000, v21
	s_delay_alu instid0(VALU_DEP_2) | instskip(NEXT) | instid1(VALU_DEP_2)
	v_cmp_eq_u64_e64 s0, v[12:13], v[23:24]
	v_cmp_eq_u64_e64 s1, 0, v[1:2]
	v_cndmask_b32_e64 v1, v20, 0xffffff8a, vcc_lo
	v_lshrrev_b32_e32 v12, 23, v21
	s_delay_alu instid0(VALU_DEP_3) | instskip(NEXT) | instid1(VALU_DEP_1)
	s_and_b32 vcc_lo, s1, s0
	v_add3_u32 v15, v1, v15, v12
	v_subrev_co_ci_u32_e32 v13, vcc_lo, 0, v21, vcc_lo
	s_mov_b32 s0, exec_lo
	s_delay_alu instid0(VALU_DEP_2) | instskip(NEXT) | instid1(VALU_DEP_2)
	v_add_nc_u32_e32 v20, -1, v15
	v_and_b32_e32 v1, 0xfffff, v13
	s_delay_alu instid0(VALU_DEP_1) | instskip(SKIP_1) | instid1(VALU_DEP_4)
	v_add_co_u32 v12, vcc_lo, v1, v21
	v_add_co_ci_u32_e32 v13, vcc_lo, 0, v22, vcc_lo
                                        ; implicit-def: $vgpr1
	v_cmpx_ne_u32_e32 0, v20
	s_xor_b32 s0, exec_lo, s0
; %bb.230:
	s_delay_alu instid0(VALU_DEP_3) | instskip(SKIP_1) | instid1(VALU_DEP_2)
	v_and_b32_e32 v1, 0x1000000, v12
	v_bfe_u32 v21, v12, 24, 1
	v_cmp_eq_u64_e32 vcc_lo, 0, v[1:2]
	s_delay_alu instid0(VALU_DEP_2)
	v_lshrrev_b64 v[12:13], v21, v[12:13]
	v_cndmask_b32_e32 v1, v15, v20, vcc_lo
; %bb.231:
	s_and_not1_saveexec_b32 s0, s0
; %bb.232:
	s_delay_alu instid0(VALU_DEP_2)
	v_bfe_u32 v1, v12, 23, 1
; %bb.233:
	s_or_b32 exec_lo, exec_lo, s0
	s_delay_alu instid0(VALU_DEP_3) | instskip(NEXT) | instid1(VALU_DEP_2)
	v_lshrrev_b64 v[12:13], 20, v[12:13]
	v_cmp_gt_i32_e32 vcc_lo, 16, v1
	v_and_b32_e32 v2, 0x80, v14
	v_min_i32_e32 v14, 15, v1
	v_cmp_eq_u32_e64 s0, 0, v1
	v_dual_cndmask_b32 v13, 0, v13 :: v_dual_cndmask_b32 v12, 7, v12
	s_delay_alu instid0(VALU_DEP_3) | instskip(NEXT) | instid1(VALU_DEP_2)
	v_lshl_or_b32 v2, v14, 3, v2
	v_cmp_eq_u64_e32 vcc_lo, 0, v[12:13]
	s_delay_alu instid0(VALU_DEP_2)
	v_and_or_b32 v1, v12, 7, v2
	s_and_b32 s0, s0, vcc_lo
	s_delay_alu instid0(VALU_DEP_1) | instid1(SALU_CYCLE_1)
	v_cndmask_b32_e64 v1, v1, 0, s0
.LBB4_234:
	s_or_b32 exec_lo, exec_lo, s5
.LBB4_235:
	s_and_not1_saveexec_b32 s0, s4
	s_delay_alu instid0(SALU_CYCLE_1)
	s_or_b32 exec_lo, exec_lo, s0
.LBB4_236:
	s_and_not1_saveexec_b32 s0, s3
	s_delay_alu instid0(SALU_CYCLE_1) | instskip(SKIP_2) | instid1(VALU_DEP_1)
	s_or_b32 exec_lo, exec_lo, s0
	v_and_b32_e32 v2, 0xffff, v3
	;;#ASMSTART
	v_cvt_f32_f16 v2, v2;
	;;#ASMEND
	v_mul_f32_e32 v2, v18, v2
	s_mov_b32 s0, 0x43600000
	v_mov_b32_e32 v14, 0
	s_delay_alu instid0(VALU_DEP_2) | instskip(SKIP_1) | instid1(VALU_DEP_1)
	v_minmax_f32 v15, v2, s0, 0xc3600000
	s_mov_b32 s0, exec_lo
	v_and_b32_e32 v13, 0x7f800000, v15
	v_lshrrev_b32_e32 v2, 24, v15
	s_delay_alu instid0(VALU_DEP_1) | instskip(NEXT) | instid1(VALU_DEP_3)
	v_or_b32_e32 v12, 0x7f, v2
	v_cmpx_ne_u64_e32 0x7f800000, v[13:14]
	s_xor_b32 s3, exec_lo, s0
	s_cbranch_execz .LBB4_246
; %bb.237:
	v_and_b32_e32 v13, 0x7fffffff, v15
	s_mov_b32 s0, exec_lo
	s_delay_alu instid0(VALU_DEP_1)
	v_cmpx_gt_u64_e32 0x43700001, v[13:14]
	s_xor_b32 s4, exec_lo, s0
	s_cbranch_execz .LBB4_245
; %bb.238:
	s_mov_b32 s5, exec_lo
	v_mov_b32_e32 v12, 0
	v_mov_b32_e32 v13, 0
	v_cmpx_ne_u32_e32 0, v15
	s_cbranch_execz .LBB4_244
; %bb.239:
	v_bfe_u32 v24, v15, 23, 8
	v_dual_mov_b32 v13, 0 :: v_dual_and_b32 v14, 0x7fffff, v15
	s_delay_alu instid0(VALU_DEP_2) | instskip(SKIP_2) | instid1(VALU_DEP_3)
	v_sub_nc_u32_e64 v12, 0x78, v24 clamp
	v_cmp_eq_u32_e32 vcc_lo, 0, v24
	v_add_nc_u32_e32 v24, 0xffffff89, v24
	v_cndmask_b32_e64 v25, v12, 0x77, vcc_lo
	v_or_b32_e32 v12, 0x800000, v14
	s_delay_alu instid0(VALU_DEP_1) | instskip(SKIP_1) | instid1(VALU_DEP_2)
	v_dual_cndmask_b32 v12, v12, v14 :: v_dual_add_nc_u32 v15, 20, v25
	v_add_nc_u32_e32 v20, 19, v25
	v_lshlrev_b64 v[14:15], v15, -1
	v_mov_b32_e32 v15, v13
	s_delay_alu instid0(VALU_DEP_4) | instskip(NEXT) | instid1(VALU_DEP_4)
	v_lshrrev_b64 v[22:23], v25, v[12:13]
	v_lshlrev_b64 v[20:21], v20, 1
	s_delay_alu instid0(VALU_DEP_4) | instskip(NEXT) | instid1(VALU_DEP_1)
	v_not_b32_e32 v14, v14
	v_and_b32_e32 v14, v12, v14
	s_delay_alu instid0(VALU_DEP_4) | instskip(NEXT) | instid1(VALU_DEP_2)
	v_and_b32_e32 v12, 0x100000, v22
	v_cmp_eq_u64_e64 s0, v[14:15], v[20:21]
	s_delay_alu instid0(VALU_DEP_2) | instskip(SKIP_2) | instid1(VALU_DEP_3)
	v_cmp_eq_u64_e64 s1, 0, v[12:13]
	v_cndmask_b32_e64 v12, v24, 0xffffff8a, vcc_lo
	v_lshrrev_b32_e32 v14, 23, v22
	s_and_b32 vcc_lo, s1, s0
	s_delay_alu instid0(VALU_DEP_1) | instskip(SKIP_2) | instid1(VALU_DEP_2)
	v_add3_u32 v20, v12, v25, v14
	v_subrev_co_ci_u32_e32 v15, vcc_lo, 0, v22, vcc_lo
	s_mov_b32 s0, exec_lo
	v_add_nc_u32_e32 v21, -1, v20
	s_delay_alu instid0(VALU_DEP_2) | instskip(NEXT) | instid1(VALU_DEP_1)
	v_and_b32_e32 v12, 0xfffff, v15
	v_add_co_u32 v14, vcc_lo, v12, v22
	v_add_co_ci_u32_e32 v15, vcc_lo, 0, v23, vcc_lo
                                        ; implicit-def: $vgpr12
	s_delay_alu instid0(VALU_DEP_4)
	v_cmpx_ne_u32_e32 0, v21
	s_xor_b32 s0, exec_lo, s0
; %bb.240:
	s_delay_alu instid0(VALU_DEP_3) | instskip(SKIP_1) | instid1(VALU_DEP_2)
	v_and_b32_e32 v12, 0x1000000, v14
	v_bfe_u32 v22, v14, 24, 1
	v_cmp_eq_u64_e32 vcc_lo, 0, v[12:13]
	s_delay_alu instid0(VALU_DEP_2)
	v_lshrrev_b64 v[14:15], v22, v[14:15]
	v_cndmask_b32_e32 v12, v20, v21, vcc_lo
; %bb.241:
	s_and_not1_saveexec_b32 s0, s0
; %bb.242:
	s_delay_alu instid0(VALU_DEP_2)
	v_bfe_u32 v12, v14, 23, 1
; %bb.243:
	s_or_b32 exec_lo, exec_lo, s0
	s_delay_alu instid0(VALU_DEP_3) | instskip(NEXT) | instid1(VALU_DEP_2)
	v_lshrrev_b64 v[13:14], 20, v[14:15]
	v_cmp_gt_i32_e32 vcc_lo, 16, v12
	v_and_b32_e32 v2, 0x80, v2
	v_min_i32_e32 v15, 15, v12
	v_cmp_eq_u32_e64 s0, 0, v12
	v_dual_cndmask_b32 v13, 7, v13 :: v_dual_cndmask_b32 v14, 0, v14
	s_delay_alu instid0(VALU_DEP_3) | instskip(NEXT) | instid1(VALU_DEP_2)
	v_lshl_or_b32 v2, v15, 3, v2
	v_cmp_eq_u64_e32 vcc_lo, 0, v[13:14]
	s_delay_alu instid0(VALU_DEP_2)
	v_and_or_b32 v2, v13, 7, v2
	s_and_b32 s0, s0, vcc_lo
	s_delay_alu instid0(VALU_DEP_1) | instid1(SALU_CYCLE_1)
	v_cndmask_b32_e64 v12, v2, 0, s0
.LBB4_244:
	s_or_b32 exec_lo, exec_lo, s5
.LBB4_245:
	s_and_not1_saveexec_b32 s0, s4
	s_delay_alu instid0(SALU_CYCLE_1)
	s_or_b32 exec_lo, exec_lo, s0
.LBB4_246:
	s_and_not1_saveexec_b32 s0, s3
	s_delay_alu instid0(SALU_CYCLE_1) | instskip(SKIP_2) | instid1(VALU_DEP_1)
	s_or_b32 exec_lo, exec_lo, s0
	v_lshrrev_b32_e32 v2, 16, v3
	;;#ASMSTART
	v_cvt_f32_f16 v2, v2;
	;;#ASMEND
	v_mul_f32_e32 v2, v18, v2
	s_mov_b32 s0, 0x43600000
	s_delay_alu instid0(VALU_DEP_1) | instid1(SALU_CYCLE_1)
	v_minmax_f32 v18, v2, s0, 0xc3600000
	v_mov_b32_e32 v14, 0
	s_mov_b32 s0, exec_lo
	s_delay_alu instid0(VALU_DEP_2) | instskip(SKIP_1) | instid1(VALU_DEP_1)
	v_and_b32_e32 v13, 0x7f800000, v18
	v_lshrrev_b32_e32 v15, 24, v18
	v_or_b32_e32 v2, 0x7f, v15
	s_delay_alu instid0(VALU_DEP_3)
	v_cmpx_ne_u64_e32 0x7f800000, v[13:14]
	s_xor_b32 s3, exec_lo, s0
	s_cbranch_execz .LBB4_256
; %bb.247:
	v_and_b32_e32 v13, 0x7fffffff, v18
	s_mov_b32 s0, exec_lo
	s_delay_alu instid0(VALU_DEP_1)
	v_cmpx_gt_u64_e32 0x43700001, v[13:14]
	s_xor_b32 s4, exec_lo, s0
	s_cbranch_execz .LBB4_255
; %bb.248:
	s_mov_b32 s5, exec_lo
	v_mov_b32_e32 v2, 0
	v_mov_b32_e32 v3, 0
	v_cmpx_ne_u32_e32 0, v18
	s_cbranch_execz .LBB4_254
; %bb.249:
	v_bfe_u32 v20, v18, 23, 8
	s_delay_alu instid0(VALU_DEP_1)
	v_sub_nc_u32_e64 v2, 0x78, v20 clamp
	v_cmp_eq_u32_e32 vcc_lo, 0, v20
	v_mov_b32_e32 v3, 0
	v_and_b32_e32 v13, 0x7fffff, v18
	v_add_nc_u32_e32 v20, 0xffffff89, v20
	v_cndmask_b32_e64 v18, v2, 0x77, vcc_lo
	s_delay_alu instid0(VALU_DEP_3) | instskip(NEXT) | instid1(VALU_DEP_2)
	v_or_b32_e32 v2, 0x800000, v13
	v_add_nc_u32_e32 v14, 20, v18
	s_delay_alu instid0(VALU_DEP_2) | instskip(NEXT) | instid1(VALU_DEP_2)
	v_dual_cndmask_b32 v2, v2, v13 :: v_dual_add_nc_u32 v23, 19, v18
	v_lshlrev_b64 v[13:14], v14, -1
	v_mov_b32_e32 v14, v3
	s_delay_alu instid0(VALU_DEP_3) | instskip(NEXT) | instid1(VALU_DEP_4)
	v_lshrrev_b64 v[21:22], v18, v[2:3]
	v_lshlrev_b64 v[23:24], v23, 1
	s_delay_alu instid0(VALU_DEP_4) | instskip(NEXT) | instid1(VALU_DEP_1)
	v_not_b32_e32 v13, v13
	v_and_b32_e32 v13, v2, v13
	s_delay_alu instid0(VALU_DEP_4) | instskip(NEXT) | instid1(VALU_DEP_2)
	v_and_b32_e32 v2, 0x100000, v21
	v_cmp_eq_u64_e64 s0, v[13:14], v[23:24]
	s_delay_alu instid0(VALU_DEP_2) | instskip(SKIP_2) | instid1(VALU_DEP_3)
	v_cmp_eq_u64_e64 s1, 0, v[2:3]
	v_cndmask_b32_e64 v2, v20, 0xffffff8a, vcc_lo
	v_lshrrev_b32_e32 v13, 23, v21
	s_and_b32 vcc_lo, s1, s0
	s_delay_alu instid0(VALU_DEP_1) | instskip(SKIP_2) | instid1(VALU_DEP_2)
	v_add3_u32 v18, v2, v18, v13
	v_subrev_co_ci_u32_e32 v14, vcc_lo, 0, v21, vcc_lo
	s_mov_b32 s0, exec_lo
	v_add_nc_u32_e32 v20, -1, v18
	s_delay_alu instid0(VALU_DEP_2) | instskip(NEXT) | instid1(VALU_DEP_1)
	v_and_b32_e32 v2, 0xfffff, v14
	v_add_co_u32 v13, vcc_lo, v2, v21
	v_add_co_ci_u32_e32 v14, vcc_lo, 0, v22, vcc_lo
                                        ; implicit-def: $vgpr2
	s_delay_alu instid0(VALU_DEP_4)
	v_cmpx_ne_u32_e32 0, v20
	s_xor_b32 s0, exec_lo, s0
; %bb.250:
	s_delay_alu instid0(VALU_DEP_3) | instskip(SKIP_1) | instid1(VALU_DEP_2)
	v_and_b32_e32 v2, 0x1000000, v13
	v_bfe_u32 v21, v13, 24, 1
	v_cmp_eq_u64_e32 vcc_lo, 0, v[2:3]
	s_delay_alu instid0(VALU_DEP_2)
	v_lshrrev_b64 v[13:14], v21, v[13:14]
	v_cndmask_b32_e32 v2, v18, v20, vcc_lo
; %bb.251:
	s_and_not1_saveexec_b32 s0, s0
; %bb.252:
	s_delay_alu instid0(VALU_DEP_2)
	v_bfe_u32 v2, v13, 23, 1
; %bb.253:
	s_or_b32 exec_lo, exec_lo, s0
	s_delay_alu instid0(VALU_DEP_3) | instskip(NEXT) | instid1(VALU_DEP_2)
	v_lshrrev_b64 v[13:14], 20, v[13:14]
	v_cmp_gt_i32_e32 vcc_lo, 16, v2
	v_and_b32_e32 v3, 0x80, v15
	v_min_i32_e32 v15, 15, v2
	v_cmp_eq_u32_e64 s0, 0, v2
	v_dual_cndmask_b32 v14, 0, v14 :: v_dual_cndmask_b32 v13, 7, v13
	s_delay_alu instid0(VALU_DEP_3) | instskip(NEXT) | instid1(VALU_DEP_2)
	v_lshl_or_b32 v3, v15, 3, v3
	v_cmp_eq_u64_e32 vcc_lo, 0, v[13:14]
	s_delay_alu instid0(VALU_DEP_2)
	v_and_or_b32 v2, v13, 7, v3
	s_and_b32 s0, s0, vcc_lo
	s_delay_alu instid0(VALU_DEP_1) | instid1(SALU_CYCLE_1)
	v_cndmask_b32_e64 v2, v2, 0, s0
.LBB4_254:
	s_or_b32 exec_lo, exec_lo, s5
.LBB4_255:
	s_and_not1_saveexec_b32 s0, s4
	s_delay_alu instid0(SALU_CYCLE_1)
	s_or_b32 exec_lo, exec_lo, s0
.LBB4_256:
	s_and_not1_saveexec_b32 s0, s3
	s_delay_alu instid0(SALU_CYCLE_1)
	s_or_b32 exec_lo, exec_lo, s0
	v_lshlrev_b32_e32 v3, 16, v12
	v_lshlrev_b64 v[12:13], 3, v[4:5]
	v_lshlrev_b32_e32 v5, 16, v10
	v_lshlrev_b32_e32 v2, 24, v2
	;; [unrolled: 1-line block ×3, first 2 shown]
	v_and_b32_e32 v3, 0xff0000, v3
	v_lshlrev_b32_e32 v9, 8, v9
	v_perm_b32 v0, v0, v5, 0x4020c0c
	v_and_b32_e32 v5, 0xff, v11
	v_and_b32_e32 v10, 0xff00, v1
	v_or_b32_e32 v2, v2, v3
	v_and_b32_e32 v8, 0xff, v8
	v_and_or_b32 v9, 0xff00, v9, v0
	v_add_co_u32 v0, vcc_lo, v16, v12
	v_add_co_ci_u32_e32 v1, vcc_lo, v17, v13, vcc_lo
	v_or3_b32 v3, v2, v10, v5
	s_delay_alu instid0(VALU_DEP_4)
	v_or_b32_e32 v2, v9, v8
	global_store_b64 v[0:1], v[2:3], off
.LBB4_257:
	s_or_b32 exec_lo, exec_lo, s2
	v_cmp_eq_u32_e32 vcc_lo, 0, v4
	s_cmp_lg_u64 s[6:7], 0
	s_cselect_b32 s0, -1, 0
	s_delay_alu instid0(SALU_CYCLE_1) | instskip(NEXT) | instid1(SALU_CYCLE_1)
	s_and_b32 s0, s0, vcc_lo
	s_and_saveexec_b32 s1, s0
	s_cbranch_execz .LBB4_259
; %bb.258:
	v_add_co_u32 v0, vcc_lo, s6, v6
	v_add_co_ci_u32_e32 v1, vcc_lo, s7, v7, vcc_lo
	global_store_b32 v[0:1], v19, off
.LBB4_259:
	s_nop 0
	s_sendmsg sendmsg(MSG_DEALLOC_VGPRS)
	s_endpgm
	.section	.rodata,"a",@progbits
	.p2align	6, 0x0
	.amdhsa_kernel _ZN4vllm24merge_attn_states_kernelItN3c1015Float8_e4m3fnuzELj128ELb1EEEvPT0_PfPKT_PKfS8_SA_jjjjjjSA_
		.amdhsa_group_segment_fixed_size 0
		.amdhsa_private_segment_fixed_size 0
		.amdhsa_kernarg_size 80
		.amdhsa_user_sgpr_count 15
		.amdhsa_user_sgpr_dispatch_ptr 0
		.amdhsa_user_sgpr_queue_ptr 0
		.amdhsa_user_sgpr_kernarg_segment_ptr 1
		.amdhsa_user_sgpr_dispatch_id 0
		.amdhsa_user_sgpr_private_segment_size 0
		.amdhsa_wavefront_size32 1
		.amdhsa_uses_dynamic_stack 0
		.amdhsa_enable_private_segment 0
		.amdhsa_system_sgpr_workgroup_id_x 1
		.amdhsa_system_sgpr_workgroup_id_y 0
		.amdhsa_system_sgpr_workgroup_id_z 0
		.amdhsa_system_sgpr_workgroup_info 0
		.amdhsa_system_vgpr_workitem_id 0
		.amdhsa_next_free_vgpr 36
		.amdhsa_next_free_sgpr 24
		.amdhsa_reserve_vcc 1
		.amdhsa_float_round_mode_32 0
		.amdhsa_float_round_mode_16_64 0
		.amdhsa_float_denorm_mode_32 3
		.amdhsa_float_denorm_mode_16_64 3
		.amdhsa_dx10_clamp 1
		.amdhsa_ieee_mode 1
		.amdhsa_fp16_overflow 0
		.amdhsa_workgroup_processor_mode 1
		.amdhsa_memory_ordered 1
		.amdhsa_forward_progress 0
		.amdhsa_shared_vgpr_count 0
		.amdhsa_exception_fp_ieee_invalid_op 0
		.amdhsa_exception_fp_denorm_src 0
		.amdhsa_exception_fp_ieee_div_zero 0
		.amdhsa_exception_fp_ieee_overflow 0
		.amdhsa_exception_fp_ieee_underflow 0
		.amdhsa_exception_fp_ieee_inexact 0
		.amdhsa_exception_int_div_zero 0
	.end_amdhsa_kernel
	.section	.text._ZN4vllm24merge_attn_states_kernelItN3c1015Float8_e4m3fnuzELj128ELb1EEEvPT0_PfPKT_PKfS8_SA_jjjjjjSA_,"axG",@progbits,_ZN4vllm24merge_attn_states_kernelItN3c1015Float8_e4m3fnuzELj128ELb1EEEvPT0_PfPKT_PKfS8_SA_jjjjjjSA_,comdat
.Lfunc_end4:
	.size	_ZN4vllm24merge_attn_states_kernelItN3c1015Float8_e4m3fnuzELj128ELb1EEEvPT0_PfPKT_PKfS8_SA_jjjjjjSA_, .Lfunc_end4-_ZN4vllm24merge_attn_states_kernelItN3c1015Float8_e4m3fnuzELj128ELb1EEEvPT0_PfPKT_PKfS8_SA_jjjjjjSA_
                                        ; -- End function
	.section	.AMDGPU.csdata,"",@progbits
; Kernel info:
; codeLenInByte = 16100
; NumSgprs: 26
; NumVgprs: 36
; ScratchSize: 0
; MemoryBound: 0
; FloatMode: 240
; IeeeMode: 1
; LDSByteSize: 0 bytes/workgroup (compile time only)
; SGPRBlocks: 3
; VGPRBlocks: 4
; NumSGPRsForWavesPerEU: 26
; NumVGPRsForWavesPerEU: 36
; Occupancy: 16
; WaveLimiterHint : 0
; COMPUTE_PGM_RSRC2:SCRATCH_EN: 0
; COMPUTE_PGM_RSRC2:USER_SGPR: 15
; COMPUTE_PGM_RSRC2:TRAP_HANDLER: 0
; COMPUTE_PGM_RSRC2:TGID_X_EN: 1
; COMPUTE_PGM_RSRC2:TGID_Y_EN: 0
; COMPUTE_PGM_RSRC2:TGID_Z_EN: 0
; COMPUTE_PGM_RSRC2:TIDIG_COMP_CNT: 0
	.section	.text._ZN4vllm24merge_attn_states_kernelIttLj128ELb0EEEvPT0_PfPKT_PKfS6_S8_jjjjjjS8_,"axG",@progbits,_ZN4vllm24merge_attn_states_kernelIttLj128ELb0EEEvPT0_PfPKT_PKfS6_S8_jjjjjjS8_,comdat
	.protected	_ZN4vllm24merge_attn_states_kernelIttLj128ELb0EEEvPT0_PfPKT_PKfS6_S8_jjjjjjS8_ ; -- Begin function _ZN4vllm24merge_attn_states_kernelIttLj128ELb0EEEvPT0_PfPKT_PKfS6_S8_jjjjjjS8_
	.globl	_ZN4vllm24merge_attn_states_kernelIttLj128ELb0EEEvPT0_PfPKT_PKfS6_S8_jjjjjjS8_
	.p2align	8
	.type	_ZN4vllm24merge_attn_states_kernelIttLj128ELb0EEEvPT0_PfPKT_PKfS6_S8_jjjjjjS8_,@function
_ZN4vllm24merge_attn_states_kernelIttLj128ELb0EEEvPT0_PfPKT_PKfS6_S8_jjjjjjS8_: ; @_ZN4vllm24merge_attn_states_kernelIttLj128ELb0EEEvPT0_PfPKT_PKfS6_S8_jjjjjjS8_
; %bb.0:
	s_load_b128 s[16:19], s[0:1], 0x30
	v_lshl_add_u32 v0, s15, 7, v0
	s_waitcnt lgkmcnt(0)
	s_lshr_b32 s12, s18, 3
	s_mul_i32 s2, s17, s16
	s_delay_alu instid0(SALU_CYCLE_1) | instskip(NEXT) | instid1(SALU_CYCLE_1)
	s_mul_i32 s2, s2, s12
	v_cmp_gt_u32_e32 vcc_lo, s2, v0
	s_and_saveexec_b32 s2, vcc_lo
	s_cbranch_execz .LBB5_19
; %bb.1:
	v_cvt_f32_u32_e32 v1, s12
	v_cvt_f32_u32_e32 v3, s17
	s_sub_i32 s2, 0, s12
	s_clause 0x1
	s_load_b64 s[14:15], s[0:1], 0x40
	s_load_b256 s[4:11], s[0:1], 0x0
	v_rcp_iflag_f32_e32 v1, v1
	v_rcp_iflag_f32_e32 v3, v3
	s_waitcnt_depctr 0xfff
	v_mul_f32_e32 v1, 0x4f7ffffe, v1
	s_delay_alu instid0(VALU_DEP_1) | instskip(NEXT) | instid1(VALU_DEP_1)
	v_cvt_u32_f32_e32 v1, v1
	v_mul_lo_u32 v2, s2, v1
	s_sub_i32 s2, 0, s17
	s_delay_alu instid0(VALU_DEP_1) | instskip(NEXT) | instid1(VALU_DEP_1)
	v_mul_hi_u32 v2, v1, v2
	v_dual_mul_f32 v2, 0x4f7ffffe, v3 :: v_dual_add_nc_u32 v1, v1, v2
	s_delay_alu instid0(VALU_DEP_1) | instskip(NEXT) | instid1(VALU_DEP_1)
	v_cvt_u32_f32_e32 v2, v2
	v_mul_lo_u32 v4, s2, v2
	s_load_b128 s[0:3], s[0:1], 0x20
	s_delay_alu instid0(VALU_DEP_1) | instskip(NEXT) | instid1(VALU_DEP_1)
	v_mul_hi_u32 v4, v2, v4
	v_add_nc_u32_e32 v2, v2, v4
	v_mov_b32_e32 v4, 0
	v_mul_hi_u32 v1, v0, v1
	s_delay_alu instid0(VALU_DEP_1) | instskip(SKIP_1) | instid1(VALU_DEP_2)
	v_mul_lo_u32 v3, v1, s12
	v_add_nc_u32_e32 v5, 1, v1
	v_sub_nc_u32_e32 v3, v0, v3
	s_delay_alu instid0(VALU_DEP_1) | instskip(SKIP_1) | instid1(VALU_DEP_4)
	v_subrev_nc_u32_e32 v6, s12, v3
	v_cmp_le_u32_e32 vcc_lo, s12, v3
	v_cndmask_b32_e32 v1, v1, v5, vcc_lo
	s_delay_alu instid0(VALU_DEP_3) | instskip(NEXT) | instid1(VALU_DEP_2)
	v_cndmask_b32_e32 v3, v3, v6, vcc_lo
	v_add_nc_u32_e32 v5, 1, v1
	s_delay_alu instid0(VALU_DEP_2) | instskip(NEXT) | instid1(VALU_DEP_2)
	v_cmp_le_u32_e32 vcc_lo, s12, v3
	v_cndmask_b32_e32 v11, v1, v5, vcc_lo
	s_delay_alu instid0(VALU_DEP_1) | instskip(SKIP_3) | instid1(VALU_DEP_3)
	v_mul_hi_u32 v1, v11, v2
	v_mul_lo_u32 v5, v11, s12
	s_waitcnt lgkmcnt(0)
	v_mul_lo_u32 v6, v11, s14
	v_mul_lo_u32 v2, v1, s17
	v_add_nc_u32_e32 v3, 1, v1
	s_delay_alu instid0(VALU_DEP_4) | instskip(NEXT) | instid1(VALU_DEP_3)
	v_sub_nc_u32_e32 v0, v0, v5
	v_sub_nc_u32_e32 v2, v11, v2
	s_delay_alu instid0(VALU_DEP_1) | instskip(SKIP_2) | instid1(VALU_DEP_3)
	v_subrev_nc_u32_e32 v7, s17, v2
	v_cmp_le_u32_e32 vcc_lo, s17, v2
	v_cndmask_b32_e32 v1, v1, v3, vcc_lo
	v_cndmask_b32_e32 v2, v2, v7, vcc_lo
	v_mul_lo_u32 v3, v11, s19
	s_delay_alu instid0(VALU_DEP_3) | instskip(NEXT) | instid1(VALU_DEP_3)
	v_dual_mov_b32 v7, v4 :: v_dual_add_nc_u32 v8, 1, v1
	v_cmp_le_u32_e32 vcc_lo, s17, v2
	s_delay_alu instid0(VALU_DEP_3) | instskip(NEXT) | instid1(VALU_DEP_3)
	v_lshlrev_b64 v[4:5], 1, v[3:4]
	v_cndmask_b32_e32 v2, v1, v8, vcc_lo
	s_delay_alu instid0(VALU_DEP_4) | instskip(SKIP_1) | instid1(VALU_DEP_3)
	v_lshlrev_b64 v[7:8], 1, v[6:7]
	v_lshlrev_b32_e32 v1, 3, v0
	v_mul_lo_u32 v3, v2, s17
	v_add_co_u32 v9, vcc_lo, s0, v4
	v_add_co_ci_u32_e32 v10, vcc_lo, s1, v5, vcc_lo
	v_add_co_u32 v7, vcc_lo, s4, v7
	v_add_co_ci_u32_e32 v8, vcc_lo, s5, v8, vcc_lo
	v_sub_nc_u32_e32 v3, v11, v3
	s_mov_b32 s0, exec_lo
	v_cmpx_le_u32_e64 s15, v2
	s_xor_b32 s0, exec_lo, s0
	s_cbranch_execz .LBB5_7
; %bb.2:
	s_mov_b32 s1, exec_lo
	v_cmpx_gt_u32_e64 s18, v1
	s_cbranch_execz .LBB5_4
; %bb.3:
	v_mov_b32_e32 v1, 0
	s_delay_alu instid0(VALU_DEP_1) | instskip(NEXT) | instid1(VALU_DEP_1)
	v_lshlrev_b64 v[4:5], 4, v[0:1]
	v_add_co_u32 v9, vcc_lo, v9, v4
	s_delay_alu instid0(VALU_DEP_2)
	v_add_co_ci_u32_e32 v10, vcc_lo, v10, v5, vcc_lo
	v_add_co_u32 v4, vcc_lo, v7, v4
	v_add_co_ci_u32_e32 v5, vcc_lo, v8, v5, vcc_lo
	global_load_b128 v[9:12], v[9:10], off
	s_waitcnt vmcnt(0)
	global_store_b128 v[4:5], v[9:12], off
.LBB5_4:
	s_or_b32 exec_lo, exec_lo, s1
	v_cmp_eq_u32_e32 vcc_lo, 0, v0
	s_cmp_lg_u64 s[6:7], 0
	s_cselect_b32 s1, -1, 0
	s_delay_alu instid0(SALU_CYCLE_1) | instskip(NEXT) | instid1(SALU_CYCLE_1)
	s_and_b32 s4, s1, vcc_lo
	s_and_saveexec_b32 s1, s4
	s_cbranch_execz .LBB5_6
; %bb.5:
	v_mad_u64_u32 v[0:1], null, v3, s16, v[2:3]
	v_mov_b32_e32 v1, 0
	s_delay_alu instid0(VALU_DEP_1) | instskip(NEXT) | instid1(VALU_DEP_1)
	v_lshlrev_b64 v[0:1], 2, v[0:1]
	v_add_co_u32 v2, vcc_lo, s2, v0
	s_delay_alu instid0(VALU_DEP_2)
	v_add_co_ci_u32_e32 v3, vcc_lo, s3, v1, vcc_lo
	v_add_co_u32 v0, vcc_lo, s6, v0
	v_add_co_ci_u32_e32 v1, vcc_lo, s7, v1, vcc_lo
	global_load_b32 v2, v[2:3], off
	s_waitcnt vmcnt(0)
	global_store_b32 v[0:1], v2, off
.LBB5_6:
	s_or_b32 exec_lo, exec_lo, s1
                                        ; implicit-def: $vgpr0
                                        ; implicit-def: $vgpr2
                                        ; implicit-def: $vgpr3
                                        ; implicit-def: $vgpr1
                                        ; implicit-def: $vgpr4_vgpr5
                                        ; implicit-def: $vgpr9
                                        ; implicit-def: $vgpr10
                                        ; implicit-def: $vgpr7
                                        ; implicit-def: $vgpr8
.LBB5_7:
	s_and_not1_saveexec_b32 s0, s0
	s_cbranch_execz .LBB5_19
; %bb.8:
	v_mad_u64_u32 v[11:12], null, v3, s16, v[2:3]
	v_mov_b32_e32 v12, 0
	s_mov_b32 s1, exec_lo
	s_delay_alu instid0(VALU_DEP_1) | instskip(NEXT) | instid1(VALU_DEP_1)
	v_lshlrev_b64 v[2:3], 2, v[11:12]
	v_add_co_u32 v11, vcc_lo, s10, v2
	s_delay_alu instid0(VALU_DEP_2)
	v_add_co_ci_u32_e32 v12, vcc_lo, s11, v3, vcc_lo
	v_add_co_u32 v13, vcc_lo, s2, v2
	v_add_co_ci_u32_e32 v14, vcc_lo, s3, v3, vcc_lo
	global_load_b32 v6, v[11:12], off
	global_load_b32 v12, v[13:14], off
	s_waitcnt vmcnt(1)
	v_cmp_neq_f32_e64 vcc_lo, 0x7f800000, |v6|
	v_cndmask_b32_e32 v11, 0xff800000, v6, vcc_lo
	s_waitcnt vmcnt(0)
	v_cmp_neq_f32_e64 vcc_lo, 0x7f800000, |v12|
	s_delay_alu instid0(VALU_DEP_2) | instskip(SKIP_1) | instid1(VALU_DEP_1)
	v_max_f32_e32 v6, v11, v11
	v_cndmask_b32_e32 v14, 0xff800000, v12, vcc_lo
	v_max_f32_e32 v12, v14, v14
	s_delay_alu instid0(VALU_DEP_1) | instskip(SKIP_2) | instid1(VALU_DEP_3)
	v_max_f32_e32 v6, v6, v12
	v_add_co_u32 v12, vcc_lo, s8, v4
	v_add_co_ci_u32_e32 v13, vcc_lo, s9, v5, vcc_lo
	v_cmpx_neq_f32_e64 0x7f800000, |v6|
	s_xor_b32 s1, exec_lo, s1
	s_cbranch_execz .LBB5_14
; %bb.9:
	v_sub_f32_e32 v4, v11, v6
	v_sub_f32_e32 v11, v14, v6
	s_mov_b32 s2, exec_lo
	s_delay_alu instid0(VALU_DEP_1) | instskip(NEXT) | instid1(VALU_DEP_1)
	v_dual_mul_f32 v5, 0x3fb8aa3b, v4 :: v_dual_mul_f32 v14, 0x3fb8aa3b, v11
	v_fma_f32 v15, 0x3fb8aa3b, v4, -v5
	v_rndne_f32_e32 v16, v5
	s_delay_alu instid0(VALU_DEP_3) | instskip(SKIP_1) | instid1(VALU_DEP_3)
	v_rndne_f32_e32 v18, v14
	v_fma_f32 v17, 0x3fb8aa3b, v11, -v14
	v_sub_f32_e32 v5, v5, v16
	s_delay_alu instid0(VALU_DEP_3) | instskip(SKIP_1) | instid1(VALU_DEP_2)
	v_dual_fmac_f32 v15, 0x32a5705f, v4 :: v_dual_sub_f32 v14, v14, v18
	v_cmp_ngt_f32_e32 vcc_lo, 0xc2ce8ed0, v4
	v_add_f32_e32 v5, v5, v15
	v_cvt_i32_f32_e32 v15, v16
	v_cvt_i32_f32_e32 v16, v18
	s_delay_alu instid0(VALU_DEP_3) | instskip(SKIP_2) | instid1(VALU_DEP_1)
	v_exp_f32_e32 v5, v5
	s_waitcnt_depctr 0xfff
	v_ldexp_f32 v5, v5, v15
	v_cndmask_b32_e32 v5, 0, v5, vcc_lo
	v_cmp_ngt_f32_e32 vcc_lo, 0xc2ce8ed0, v11
	v_fmac_f32_e32 v17, 0x32a5705f, v11
	s_delay_alu instid0(VALU_DEP_1) | instskip(NEXT) | instid1(VALU_DEP_1)
	v_add_f32_e32 v14, v14, v17
	v_exp_f32_e32 v14, v14
	s_waitcnt_depctr 0xfff
	v_ldexp_f32 v14, v14, v16
	s_delay_alu instid0(VALU_DEP_1) | instskip(SKIP_3) | instid1(VALU_DEP_4)
	v_cndmask_b32_e32 v14, 0, v14, vcc_lo
	v_cmp_nlt_f32_e32 vcc_lo, 0x42b17218, v4
	v_cndmask_b32_e32 v5, 0x7f800000, v5, vcc_lo
	v_cmp_nlt_f32_e32 vcc_lo, 0x42b17218, v11
	v_cndmask_b32_e32 v11, 0x7f800000, v14, vcc_lo
	s_delay_alu instid0(VALU_DEP_1)
	v_add_f32_e32 v4, v5, v11
	v_cmpx_gt_u32_e64 s18, v1
	s_cbranch_execz .LBB5_11
; %bb.10:
	v_mov_b32_e32 v1, 0
	s_delay_alu instid0(VALU_DEP_1) | instskip(SKIP_1) | instid1(VALU_DEP_2)
	v_lshlrev_b64 v[20:21], 4, v[0:1]
	v_div_scale_f32 v1, null, v4, v4, v11
	v_add_co_u32 v12, vcc_lo, v12, v20
	s_delay_alu instid0(VALU_DEP_3)
	v_add_co_ci_u32_e32 v13, vcc_lo, v13, v21, vcc_lo
	v_add_co_u32 v9, vcc_lo, v9, v20
	v_add_co_ci_u32_e32 v10, vcc_lo, v10, v21, vcc_lo
	v_div_scale_f32 v25, vcc_lo, v11, v4, v11
	global_load_b128 v[12:15], v[12:13], off
	global_load_b128 v[16:19], v[9:10], off
	v_div_scale_f32 v9, null, v4, v4, v5
	v_rcp_f32_e32 v10, v1
	s_delay_alu instid0(VALU_DEP_1) | instskip(SKIP_3) | instid1(VALU_DEP_2)
	v_rcp_f32_e32 v22, v9
	s_waitcnt_depctr 0xfff
	v_fma_f32 v23, -v1, v10, 1.0
	v_fma_f32 v24, -v9, v22, 1.0
	v_fmac_f32_e32 v10, v23, v10
	v_div_scale_f32 v23, s0, v5, v4, v5
	s_delay_alu instid0(VALU_DEP_3) | instskip(NEXT) | instid1(VALU_DEP_3)
	v_fmac_f32_e32 v22, v24, v22
	v_mul_f32_e32 v24, v25, v10
	s_delay_alu instid0(VALU_DEP_2) | instskip(NEXT) | instid1(VALU_DEP_2)
	v_mul_f32_e32 v26, v23, v22
	v_fma_f32 v27, -v1, v24, v25
	s_delay_alu instid0(VALU_DEP_1) | instskip(NEXT) | instid1(VALU_DEP_1)
	v_fmac_f32_e32 v24, v27, v10
	v_fma_f32 v1, -v1, v24, v25
	s_delay_alu instid0(VALU_DEP_1) | instskip(SKIP_1) | instid1(VALU_DEP_1)
	v_div_fmas_f32 v1, v1, v10, v24
	s_mov_b32 vcc_lo, s0
	v_div_fixup_f32 v1, v1, v4, v11
	s_waitcnt vmcnt(1)
	v_lshrrev_b32_e32 v10, 16, v15
	v_and_b32_e32 v15, 0xffff, v15
	v_fma_f32 v28, -v9, v26, v23
	s_waitcnt vmcnt(0)
	v_lshrrev_b32_e32 v11, 16, v16
	v_lshrrev_b32_e32 v24, 16, v19
	v_and_b32_e32 v19, 0xffff, v19
	v_and_b32_e32 v16, 0xffff, v16
	v_fmac_f32_e32 v26, v28, v22
	s_delay_alu instid0(VALU_DEP_1) | instskip(SKIP_2) | instid1(VALU_DEP_3)
	v_fma_f32 v9, -v9, v26, v23
	v_lshrrev_b32_e32 v23, 16, v18
	v_and_b32_e32 v18, 0xffff, v18
	v_div_fmas_f32 v9, v9, v22, v26
	v_add_co_u32 v20, vcc_lo, v7, v20
	v_add_co_ci_u32_e32 v21, vcc_lo, v8, v21, vcc_lo
	s_delay_alu instid0(VALU_DEP_3)
	v_div_fixup_f32 v5, v9, v4, v5
	v_lshrrev_b32_e32 v7, 16, v12
	v_lshrrev_b32_e32 v8, 16, v13
	;; [unrolled: 1-line block ×4, first 2 shown]
	v_and_b32_e32 v12, 0xffff, v12
	v_and_b32_e32 v13, 0xffff, v13
	;; [unrolled: 1-line block ×4, first 2 shown]
	;;#ASMSTART
	v_cvt_f32_f16 v12, v12;
	;;#ASMEND
	;;#ASMSTART
	v_cvt_f32_f16 v16, v16;
	;;#ASMEND
	;; [unrolled: 3-line block ×14, first 2 shown]
	v_mul_f32_e32 v19, v1, v19
	;;#ASMSTART
	v_cvt_f32_f16 v10, v10;
	;;#ASMEND
	;;#ASMSTART
	v_cvt_f32_f16 v24, v24;
	;;#ASMEND
	v_mul_f32_e32 v16, v1, v16
	v_mul_f32_e32 v11, v1, v11
	;; [unrolled: 1-line block ×7, first 2 shown]
	v_fmac_f32_e32 v16, v5, v12
	v_fmac_f32_e32 v11, v5, v7
	;; [unrolled: 1-line block ×8, first 2 shown]
	;;#ASMSTART
	v_cvt_f16_f32 v5, v16;

	;;#ASMEND
	;;#ASMSTART
	v_cvt_f16_f32 v7, v11;

	;;#ASMEND
	;; [unrolled: 4-line block ×8, first 2 shown]
	v_perm_b32 v7, v7, v5, 0x5040100
	v_perm_b32 v8, v9, v8, 0x5040100
	;; [unrolled: 1-line block ×4, first 2 shown]
	global_store_b128 v[20:21], v[7:10], off
.LBB5_11:
	s_or_b32 exec_lo, exec_lo, s2
	v_cmp_eq_u32_e32 vcc_lo, 0, v0
	s_cmp_lg_u64 s[6:7], 0
	s_cselect_b32 s0, -1, 0
	s_delay_alu instid0(SALU_CYCLE_1) | instskip(NEXT) | instid1(SALU_CYCLE_1)
	s_and_b32 s0, s0, vcc_lo
	s_and_saveexec_b32 s2, s0
	s_cbranch_execz .LBB5_13
; %bb.12:
	v_cmp_gt_f32_e32 vcc_lo, 0x800000, v4
	v_cndmask_b32_e64 v0, 1.0, 0x4f800000, vcc_lo
	s_delay_alu instid0(VALU_DEP_1) | instskip(NEXT) | instid1(VALU_DEP_1)
	v_mul_f32_e32 v0, v4, v0
	v_log_f32_e32 v0, v0
	s_waitcnt_depctr 0xfff
	v_mul_f32_e32 v1, 0x3f317217, v0
	v_cmp_gt_f32_e64 s0, 0x7f800000, |v0|
	s_delay_alu instid0(VALU_DEP_2) | instskip(NEXT) | instid1(VALU_DEP_1)
	v_fma_f32 v4, 0x3f317217, v0, -v1
	v_fmamk_f32 v4, v0, 0x3377d1cf, v4
	s_delay_alu instid0(VALU_DEP_1) | instskip(NEXT) | instid1(VALU_DEP_1)
	v_add_f32_e32 v1, v1, v4
	v_cndmask_b32_e64 v0, v0, v1, s0
	v_cndmask_b32_e64 v1, 0, 0x41b17218, vcc_lo
	s_delay_alu instid0(VALU_DEP_1) | instskip(SKIP_2) | instid1(VALU_DEP_3)
	v_sub_f32_e32 v4, v0, v1
	v_add_co_u32 v0, vcc_lo, s6, v2
	v_add_co_ci_u32_e32 v1, vcc_lo, s7, v3, vcc_lo
	v_add_f32_e32 v2, v6, v4
	global_store_b32 v[0:1], v2, off
.LBB5_13:
	s_or_b32 exec_lo, exec_lo, s2
                                        ; implicit-def: $vgpr0
                                        ; implicit-def: $vgpr2_vgpr3
                                        ; implicit-def: $vgpr6
                                        ; implicit-def: $vgpr1
                                        ; implicit-def: $vgpr7
                                        ; implicit-def: $vgpr8
                                        ; implicit-def: $vgpr12
                                        ; implicit-def: $vgpr13
.LBB5_14:
	s_and_not1_saveexec_b32 s0, s1
	s_cbranch_execz .LBB5_19
; %bb.15:
	s_mov_b32 s0, exec_lo
	v_cmpx_gt_u32_e64 s18, v1
	s_cbranch_execz .LBB5_17
; %bb.16:
	v_mov_b32_e32 v1, 0
	s_delay_alu instid0(VALU_DEP_1) | instskip(NEXT) | instid1(VALU_DEP_1)
	v_lshlrev_b64 v[4:5], 4, v[0:1]
	v_add_co_u32 v9, vcc_lo, v12, v4
	s_delay_alu instid0(VALU_DEP_2)
	v_add_co_ci_u32_e32 v10, vcc_lo, v13, v5, vcc_lo
	v_add_co_u32 v4, vcc_lo, v7, v4
	v_add_co_ci_u32_e32 v5, vcc_lo, v8, v5, vcc_lo
	global_load_b128 v[9:12], v[9:10], off
	s_waitcnt vmcnt(0)
	global_store_b128 v[4:5], v[9:12], off
.LBB5_17:
	s_or_b32 exec_lo, exec_lo, s0
	v_cmp_eq_u32_e32 vcc_lo, 0, v0
	s_cmp_lg_u64 s[6:7], 0
	s_cselect_b32 s0, -1, 0
	s_delay_alu instid0(SALU_CYCLE_1) | instskip(NEXT) | instid1(SALU_CYCLE_1)
	s_and_b32 s0, s0, vcc_lo
	s_and_saveexec_b32 s1, s0
	s_cbranch_execz .LBB5_19
; %bb.18:
	v_add_co_u32 v0, vcc_lo, s6, v2
	v_add_co_ci_u32_e32 v1, vcc_lo, s7, v3, vcc_lo
	global_store_b32 v[0:1], v6, off
.LBB5_19:
	s_nop 0
	s_sendmsg sendmsg(MSG_DEALLOC_VGPRS)
	s_endpgm
	.section	.rodata,"a",@progbits
	.p2align	6, 0x0
	.amdhsa_kernel _ZN4vllm24merge_attn_states_kernelIttLj128ELb0EEEvPT0_PfPKT_PKfS6_S8_jjjjjjS8_
		.amdhsa_group_segment_fixed_size 0
		.amdhsa_private_segment_fixed_size 0
		.amdhsa_kernarg_size 80
		.amdhsa_user_sgpr_count 15
		.amdhsa_user_sgpr_dispatch_ptr 0
		.amdhsa_user_sgpr_queue_ptr 0
		.amdhsa_user_sgpr_kernarg_segment_ptr 1
		.amdhsa_user_sgpr_dispatch_id 0
		.amdhsa_user_sgpr_private_segment_size 0
		.amdhsa_wavefront_size32 1
		.amdhsa_uses_dynamic_stack 0
		.amdhsa_enable_private_segment 0
		.amdhsa_system_sgpr_workgroup_id_x 1
		.amdhsa_system_sgpr_workgroup_id_y 0
		.amdhsa_system_sgpr_workgroup_id_z 0
		.amdhsa_system_sgpr_workgroup_info 0
		.amdhsa_system_vgpr_workitem_id 0
		.amdhsa_next_free_vgpr 29
		.amdhsa_next_free_sgpr 20
		.amdhsa_reserve_vcc 1
		.amdhsa_float_round_mode_32 0
		.amdhsa_float_round_mode_16_64 0
		.amdhsa_float_denorm_mode_32 3
		.amdhsa_float_denorm_mode_16_64 3
		.amdhsa_dx10_clamp 1
		.amdhsa_ieee_mode 1
		.amdhsa_fp16_overflow 0
		.amdhsa_workgroup_processor_mode 1
		.amdhsa_memory_ordered 1
		.amdhsa_forward_progress 0
		.amdhsa_shared_vgpr_count 0
		.amdhsa_exception_fp_ieee_invalid_op 0
		.amdhsa_exception_fp_denorm_src 0
		.amdhsa_exception_fp_ieee_div_zero 0
		.amdhsa_exception_fp_ieee_overflow 0
		.amdhsa_exception_fp_ieee_underflow 0
		.amdhsa_exception_fp_ieee_inexact 0
		.amdhsa_exception_int_div_zero 0
	.end_amdhsa_kernel
	.section	.text._ZN4vllm24merge_attn_states_kernelIttLj128ELb0EEEvPT0_PfPKT_PKfS6_S8_jjjjjjS8_,"axG",@progbits,_ZN4vllm24merge_attn_states_kernelIttLj128ELb0EEEvPT0_PfPKT_PKfS6_S8_jjjjjjS8_,comdat
.Lfunc_end5:
	.size	_ZN4vllm24merge_attn_states_kernelIttLj128ELb0EEEvPT0_PfPKT_PKfS6_S8_jjjjjjS8_, .Lfunc_end5-_ZN4vllm24merge_attn_states_kernelIttLj128ELb0EEEvPT0_PfPKT_PKfS6_S8_jjjjjjS8_
                                        ; -- End function
	.section	.AMDGPU.csdata,"",@progbits
; Kernel info:
; codeLenInByte = 2324
; NumSgprs: 22
; NumVgprs: 29
; ScratchSize: 0
; MemoryBound: 1
; FloatMode: 240
; IeeeMode: 1
; LDSByteSize: 0 bytes/workgroup (compile time only)
; SGPRBlocks: 2
; VGPRBlocks: 3
; NumSGPRsForWavesPerEU: 22
; NumVGPRsForWavesPerEU: 29
; Occupancy: 16
; WaveLimiterHint : 0
; COMPUTE_PGM_RSRC2:SCRATCH_EN: 0
; COMPUTE_PGM_RSRC2:USER_SGPR: 15
; COMPUTE_PGM_RSRC2:TRAP_HANDLER: 0
; COMPUTE_PGM_RSRC2:TGID_X_EN: 1
; COMPUTE_PGM_RSRC2:TGID_Y_EN: 0
; COMPUTE_PGM_RSRC2:TGID_Z_EN: 0
; COMPUTE_PGM_RSRC2:TIDIG_COMP_CNT: 0
	.section	.text._ZN4vllm24merge_attn_states_kernelI14__hip_bfloat16N3c1013Float8_e4m3fnELj128ELb1EEEvPT0_PfPKT_PKfS9_SB_jjjjjjSB_,"axG",@progbits,_ZN4vllm24merge_attn_states_kernelI14__hip_bfloat16N3c1013Float8_e4m3fnELj128ELb1EEEvPT0_PfPKT_PKfS9_SB_jjjjjjSB_,comdat
	.protected	_ZN4vllm24merge_attn_states_kernelI14__hip_bfloat16N3c1013Float8_e4m3fnELj128ELb1EEEvPT0_PfPKT_PKfS9_SB_jjjjjjSB_ ; -- Begin function _ZN4vllm24merge_attn_states_kernelI14__hip_bfloat16N3c1013Float8_e4m3fnELj128ELb1EEEvPT0_PfPKT_PKfS9_SB_jjjjjjSB_
	.globl	_ZN4vllm24merge_attn_states_kernelI14__hip_bfloat16N3c1013Float8_e4m3fnELj128ELb1EEEvPT0_PfPKT_PKfS9_SB_jjjjjjSB_
	.p2align	8
	.type	_ZN4vllm24merge_attn_states_kernelI14__hip_bfloat16N3c1013Float8_e4m3fnELj128ELb1EEEvPT0_PfPKT_PKfS9_SB_jjjjjjSB_,@function
_ZN4vllm24merge_attn_states_kernelI14__hip_bfloat16N3c1013Float8_e4m3fnELj128ELb1EEEvPT0_PfPKT_PKfS9_SB_jjjjjjSB_: ; @_ZN4vllm24merge_attn_states_kernelI14__hip_bfloat16N3c1013Float8_e4m3fnELj128ELb1EEEvPT0_PfPKT_PKfS9_SB_jjjjjjSB_
; %bb.0:
	s_load_b128 s[16:19], s[0:1], 0x30
	v_lshl_add_u32 v0, s15, 7, v0
	s_waitcnt lgkmcnt(0)
	s_lshr_b32 s2, s18, 3
	s_mul_i32 s3, s17, s16
	s_delay_alu instid0(SALU_CYCLE_1) | instskip(NEXT) | instid1(SALU_CYCLE_1)
	s_mul_i32 s3, s3, s2
	v_cmp_gt_u32_e32 vcc_lo, s3, v0
	s_and_saveexec_b32 s3, vcc_lo
	s_cbranch_execz .LBB6_403
; %bb.1:
	v_cvt_f32_u32_e32 v1, s2
	v_cvt_f32_u32_e32 v3, s17
	s_sub_i32 s3, 0, s2
	s_clause 0x1
	s_load_b128 s[20:23], s[0:1], 0x40
	s_load_b128 s[12:15], s[0:1], 0x20
	v_rcp_iflag_f32_e32 v1, v1
	v_rcp_iflag_f32_e32 v3, v3
	s_sub_i32 s4, 0, s17
	s_waitcnt_depctr 0xfff
	v_mul_f32_e32 v1, 0x4f7ffffe, v1
	s_delay_alu instid0(VALU_DEP_1) | instskip(NEXT) | instid1(VALU_DEP_1)
	v_cvt_u32_f32_e32 v1, v1
	v_mul_lo_u32 v2, s3, v1
	s_waitcnt lgkmcnt(0)
	s_load_b32 s3, s[22:23], 0x0
	s_delay_alu instid0(VALU_DEP_1) | instskip(NEXT) | instid1(VALU_DEP_1)
	v_mul_hi_u32 v2, v1, v2
	v_dual_mul_f32 v2, 0x4f7ffffe, v3 :: v_dual_add_nc_u32 v1, v1, v2
	s_waitcnt lgkmcnt(0)
	v_div_scale_f32 v6, null, s3, s3, 1.0
	s_delay_alu instid0(VALU_DEP_2) | instskip(NEXT) | instid1(VALU_DEP_3)
	v_mul_hi_u32 v1, v0, v1
	v_cvt_u32_f32_e32 v2, v2
	s_delay_alu instid0(VALU_DEP_1) | instskip(SKIP_1) | instid1(VALU_DEP_3)
	v_mul_lo_u32 v4, s4, v2
	s_load_b256 s[4:11], s[0:1], 0x0
	v_mul_lo_u32 v3, v1, s2
	v_add_nc_u32_e32 v5, 1, v1
	s_delay_alu instid0(VALU_DEP_3) | instskip(NEXT) | instid1(VALU_DEP_3)
	v_mul_hi_u32 v4, v2, v4
	v_sub_nc_u32_e32 v3, v0, v3
	s_delay_alu instid0(VALU_DEP_1) | instskip(SKIP_1) | instid1(VALU_DEP_4)
	v_subrev_nc_u32_e32 v7, s2, v3
	v_cmp_le_u32_e32 vcc_lo, s2, v3
	v_dual_cndmask_b32 v1, v1, v5 :: v_dual_add_nc_u32 v2, v2, v4
	s_delay_alu instid0(VALU_DEP_3) | instskip(SKIP_1) | instid1(VALU_DEP_2)
	v_cndmask_b32_e32 v3, v3, v7, vcc_lo
	v_rcp_f32_e32 v5, v6
	v_add_nc_u32_e32 v7, 1, v1
	s_delay_alu instid0(VALU_DEP_2) | instskip(NEXT) | instid1(VALU_DEP_2)
	v_cmp_le_u32_e32 vcc_lo, s2, v3
	v_cndmask_b32_e32 v7, v1, v7, vcc_lo
	s_waitcnt_depctr 0xfff
	v_fma_f32 v1, -v6, v5, 1.0
	v_div_scale_f32 v3, vcc_lo, 1.0, s3, 1.0
	v_mul_hi_u32 v2, v7, v2
	s_delay_alu instid0(VALU_DEP_3) | instskip(NEXT) | instid1(VALU_DEP_1)
	v_fmac_f32_e32 v5, v1, v5
	v_mul_f32_e32 v8, v3, v5
	s_delay_alu instid0(VALU_DEP_3) | instskip(SKIP_1) | instid1(VALU_DEP_3)
	v_mul_lo_u32 v1, v2, s17
	v_add_nc_u32_e32 v9, 1, v2
	v_fma_f32 v4, -v6, v8, v3
	s_delay_alu instid0(VALU_DEP_3) | instskip(NEXT) | instid1(VALU_DEP_2)
	v_sub_nc_u32_e32 v1, v7, v1
	v_fmac_f32_e32 v8, v4, v5
	s_delay_alu instid0(VALU_DEP_2) | instskip(SKIP_1) | instid1(VALU_DEP_3)
	v_subrev_nc_u32_e32 v4, s17, v1
	v_cmp_le_u32_e64 s0, s17, v1
	v_fma_f32 v3, -v6, v8, v3
	s_delay_alu instid0(VALU_DEP_2) | instskip(NEXT) | instid1(VALU_DEP_4)
	v_cndmask_b32_e64 v9, v2, v9, s0
	v_cndmask_b32_e64 v4, v1, v4, s0
	v_mov_b32_e32 v2, 0
	s_delay_alu instid0(VALU_DEP_4) | instskip(NEXT) | instid1(VALU_DEP_4)
	v_div_fmas_f32 v3, v3, v5, v8
	v_add_nc_u32_e32 v6, 1, v9
	s_delay_alu instid0(VALU_DEP_4)
	v_cmp_le_u32_e64 s0, s17, v4
	v_mul_lo_u32 v10, v7, s2
	v_mul_lo_u32 v1, v7, s19
	;; [unrolled: 1-line block ×3, first 2 shown]
	v_div_fixup_f32 v21, v3, s3, 1.0
	v_cndmask_b32_e64 v4, v9, v6, s0
	v_sub_nc_u32_e32 v8, v0, v10
	v_lshlrev_b64 v[0:1], 1, v[1:2]
	s_delay_alu instid0(VALU_DEP_3) | instskip(SKIP_2) | instid1(VALU_DEP_1)
	v_mul_lo_u32 v6, v4, s17
	s_waitcnt lgkmcnt(0)
	v_add_co_u32 v19, s0, s4, v11
	v_add_co_ci_u32_e64 v20, null, s5, 0, s0
	s_delay_alu instid0(VALU_DEP_4)
	v_add_co_u32 v2, vcc_lo, s12, v0
	v_lshlrev_b32_e32 v5, 3, v8
	v_add_co_ci_u32_e32 v3, vcc_lo, s13, v1, vcc_lo
	v_sub_nc_u32_e32 v18, v7, v6
	s_mov_b32 s0, exec_lo
	v_cmpx_le_u32_e64 s21, v4
	s_xor_b32 s2, exec_lo, s0
	s_cbranch_execz .LBB6_135
; %bb.2:
	s_mov_b32 s3, exec_lo
	v_cmpx_gt_u32_e64 s18, v5
	s_cbranch_execz .LBB6_132
; %bb.3:
	v_mov_b32_e32 v9, 0
	s_mov_b32 s0, 0x43e00000
	s_delay_alu instid0(VALU_DEP_1) | instskip(NEXT) | instid1(VALU_DEP_1)
	v_lshlrev_b64 v[0:1], 4, v[8:9]
	v_add_co_u32 v0, vcc_lo, v2, v0
	s_delay_alu instid0(VALU_DEP_2) | instskip(SKIP_3) | instid1(VALU_DEP_1)
	v_add_co_ci_u32_e32 v1, vcc_lo, v3, v1, vcc_lo
	global_load_b128 v[0:3], v[0:1], off
	s_waitcnt vmcnt(0)
	v_lshlrev_b32_e32 v5, 16, v0
	v_mul_f32_e32 v5, v21, v5
	s_delay_alu instid0(VALU_DEP_1) | instskip(SKIP_1) | instid1(VALU_DEP_1)
	v_minmax_f32 v12, v5, s0, 0xc3e00000
	s_mov_b32 s0, exec_lo
	v_lshrrev_b32_e32 v6, 24, v12
	v_and_b32_e32 v13, 0x7f800000, v12
	v_and_b32_e32 v10, 0x7fffff, v12
	v_mov_b32_e32 v14, v9
	v_mov_b32_e32 v11, v9
	v_and_b32_e32 v7, 0x80, v6
	s_delay_alu instid0(VALU_DEP_1) | instskip(NEXT) | instid1(VALU_DEP_4)
	v_or_b32_e32 v5, 0x7e, v7
	v_cmpx_ne_u64_e32 0x7f800000, v[13:14]
	s_xor_b32 s4, exec_lo, s0
	s_cbranch_execz .LBB6_17
; %bb.4:
	v_dual_mov_b32 v14, v9 :: v_dual_and_b32 v13, 0x7fffffff, v12
	s_mov_b32 s0, exec_lo
	s_delay_alu instid0(VALU_DEP_1)
	v_cmpx_gt_u64_e32 0x43e00001, v[13:14]
	s_xor_b32 s5, exec_lo, s0
	s_cbranch_execz .LBB6_16
; %bb.5:
	s_mov_b32 s12, exec_lo
	v_mov_b32_e32 v5, 0
	v_mov_b32_e32 v6, 0
	v_cmpx_ne_u32_e32 0, v12
	s_cbranch_execz .LBB6_15
; %bb.6:
	v_bfe_u32 v17, v12, 23, 8
	v_mov_b32_e32 v12, 0
	s_delay_alu instid0(VALU_DEP_2) | instskip(SKIP_1) | instid1(VALU_DEP_2)
	v_sub_nc_u32_e64 v5, 0x79, v17 clamp
	v_cmp_eq_u32_e32 vcc_lo, 0, v17
	v_cndmask_b32_e64 v22, v5, 0x78, vcc_lo
	v_or_b32_e32 v5, 0x800000, v10
	s_delay_alu instid0(VALU_DEP_2) | instskip(NEXT) | instid1(VALU_DEP_2)
	v_add_nc_u32_e32 v6, 20, v22
	v_cndmask_b32_e32 v10, v5, v10, vcc_lo
	v_add_nc_u32_e32 v13, 19, v22
	s_delay_alu instid0(VALU_DEP_3) | instskip(NEXT) | instid1(VALU_DEP_3)
	v_lshlrev_b64 v[5:6], v6, -1
	v_lshrrev_b64 v[15:16], v22, v[10:11]
	s_delay_alu instid0(VALU_DEP_2) | instskip(NEXT) | instid1(VALU_DEP_3)
	v_not_b32_e32 v14, v6
	v_not_b32_e32 v23, v5
	v_lshlrev_b64 v[5:6], v13, 1
	s_delay_alu instid0(VALU_DEP_4) | instskip(NEXT) | instid1(VALU_DEP_4)
	v_and_b32_e32 v11, 0x100000, v15
	v_and_b32_e32 v14, 0, v14
	s_delay_alu instid0(VALU_DEP_4) | instskip(SKIP_1) | instid1(VALU_DEP_4)
	v_and_b32_e32 v13, v10, v23
	v_add_nc_u32_e32 v10, 0xffffff88, v17
	v_cmp_eq_u64_e64 s0, 0, v[11:12]
	s_delay_alu instid0(VALU_DEP_3) | instskip(NEXT) | instid1(VALU_DEP_3)
	v_cmp_eq_u64_e64 s1, v[13:14], v[5:6]
	v_cndmask_b32_e64 v5, v10, 0xffffff89, vcc_lo
	v_lshrrev_b32_e32 v6, 23, v15
                                        ; implicit-def: $vgpr13
	s_delay_alu instid0(VALU_DEP_3) | instskip(NEXT) | instid1(VALU_DEP_1)
	s_and_b32 vcc_lo, s0, s1
	v_add3_u32 v10, v5, v22, v6
	v_subrev_co_ci_u32_e32 v11, vcc_lo, 0, v15, vcc_lo
	s_mov_b32 s0, exec_lo
	s_delay_alu instid0(VALU_DEP_2) | instskip(NEXT) | instid1(VALU_DEP_2)
	v_add_nc_u32_e32 v14, -1, v10
	v_and_b32_e32 v5, 0xfffff, v11
	s_delay_alu instid0(VALU_DEP_1) | instskip(SKIP_1) | instid1(VALU_DEP_4)
	v_add_co_u32 v5, vcc_lo, v5, v15
	v_add_co_ci_u32_e32 v6, vcc_lo, 0, v16, vcc_lo
	v_cmpx_ne_u32_e32 0, v14
	s_xor_b32 s0, exec_lo, s0
; %bb.7:
	s_delay_alu instid0(VALU_DEP_3) | instskip(SKIP_1) | instid1(VALU_DEP_2)
	v_and_b32_e32 v11, 0x1000000, v5
	v_bfe_u32 v13, v5, 24, 1
	v_cmp_eq_u64_e32 vcc_lo, 0, v[11:12]
	s_delay_alu instid0(VALU_DEP_2)
	v_lshrrev_b64 v[5:6], v13, v[5:6]
	v_cndmask_b32_e32 v13, v10, v14, vcc_lo
; %bb.8:
	s_and_not1_saveexec_b32 s0, s0
; %bb.9:
	s_delay_alu instid0(VALU_DEP_2)
	v_bfe_u32 v13, v5, 23, 1
; %bb.10:
	s_or_b32 exec_lo, exec_lo, s0
	s_delay_alu instid0(VALU_DEP_3) | instskip(NEXT) | instid1(VALU_DEP_2)
	v_lshrrev_b64 v[5:6], 20, v[5:6]
	v_cmp_gt_i32_e32 vcc_lo, 16, v13
	v_cmp_ne_u32_e64 s0, 0, v13
	s_delay_alu instid0(VALU_DEP_3) | instskip(NEXT) | instid1(VALU_DEP_1)
	v_dual_cndmask_b32 v11, 0, v6 :: v_dual_cndmask_b32 v10, 7, v5
                                        ; implicit-def: $vgpr5_vgpr6
	v_cmp_ne_u64_e32 vcc_lo, 0, v[10:11]
	s_delay_alu instid0(VALU_DEP_3) | instskip(NEXT) | instid1(SALU_CYCLE_1)
	s_or_b32 s0, s0, vcc_lo
	s_and_saveexec_b32 s1, s0
	s_delay_alu instid0(SALU_CYCLE_1)
	s_xor_b32 s0, exec_lo, s1
; %bb.11:
	v_min_i32_e32 v5, 15, v13
	s_delay_alu instid0(VALU_DEP_1) | instskip(NEXT) | instid1(VALU_DEP_1)
	v_lshl_or_b32 v5, v5, 3, v7
                                        ; implicit-def: $vgpr7
	v_and_or_b32 v5, v10, 7, v5
; %bb.12:
	s_and_not1_saveexec_b32 s0, s0
; %bb.13:
	v_dual_mov_b32 v5, v7 :: v_dual_mov_b32 v6, v8
; %bb.14:
	s_or_b32 exec_lo, exec_lo, s0
.LBB6_15:
	s_delay_alu instid0(SALU_CYCLE_1)
	s_or_b32 exec_lo, exec_lo, s12
.LBB6_16:
	s_and_not1_saveexec_b32 s0, s5
	s_delay_alu instid0(SALU_CYCLE_1)
	s_or_b32 exec_lo, exec_lo, s0
                                        ; implicit-def: $vgpr6
                                        ; implicit-def: $vgpr10_vgpr11
.LBB6_17:
	s_and_not1_saveexec_b32 s0, s4
; %bb.18:
	v_cmp_eq_u64_e32 vcc_lo, 0, v[10:11]
	v_or_b32_e32 v6, 0x7f, v6
	s_delay_alu instid0(VALU_DEP_1)
	v_cndmask_b32_e32 v5, v6, v5, vcc_lo
; %bb.19:
	s_or_b32 exec_lo, exec_lo, s0
	v_dual_mov_b32 v11, 0 :: v_dual_and_b32 v0, 0xffff0000, v0
	s_mov_b32 s0, 0x43e00000
	s_delay_alu instid0(VALU_DEP_1) | instskip(NEXT) | instid1(VALU_DEP_2)
	v_mul_f32_e32 v0, v21, v0
	v_mov_b32_e32 v14, v11
	s_delay_alu instid0(VALU_DEP_2) | instskip(SKIP_1) | instid1(VALU_DEP_1)
	v_minmax_f32 v12, v0, s0, 0xc3e00000
	s_mov_b32 s0, exec_lo
	v_lshrrev_b32_e32 v7, 24, v12
	v_and_b32_e32 v13, 0x7f800000, v12
	v_and_b32_e32 v10, 0x7fffff, v12
	s_delay_alu instid0(VALU_DEP_3) | instskip(NEXT) | instid1(VALU_DEP_1)
	v_and_b32_e32 v0, 0x80, v7
	v_or_b32_e32 v6, 0x7e, v0
	s_delay_alu instid0(VALU_DEP_4)
	v_cmpx_ne_u64_e32 0x7f800000, v[13:14]
	s_xor_b32 s4, exec_lo, s0
	s_cbranch_execz .LBB6_33
; %bb.20:
	v_dual_mov_b32 v14, v11 :: v_dual_and_b32 v13, 0x7fffffff, v12
	s_mov_b32 s0, exec_lo
	s_delay_alu instid0(VALU_DEP_1)
	v_cmpx_gt_u64_e32 0x43e00001, v[13:14]
	s_xor_b32 s5, exec_lo, s0
	s_cbranch_execz .LBB6_32
; %bb.21:
	s_mov_b32 s12, exec_lo
	v_mov_b32_e32 v6, 0
	v_mov_b32_e32 v7, 0
	v_cmpx_ne_u32_e32 0, v12
	s_cbranch_execz .LBB6_31
; %bb.22:
	v_bfe_u32 v17, v12, 23, 8
	v_mov_b32_e32 v12, 0
	s_delay_alu instid0(VALU_DEP_2) | instskip(SKIP_1) | instid1(VALU_DEP_2)
	v_sub_nc_u32_e64 v6, 0x79, v17 clamp
	v_cmp_eq_u32_e32 vcc_lo, 0, v17
	v_cndmask_b32_e64 v22, v6, 0x78, vcc_lo
	v_or_b32_e32 v6, 0x800000, v10
	s_delay_alu instid0(VALU_DEP_2) | instskip(NEXT) | instid1(VALU_DEP_2)
	v_add_nc_u32_e32 v7, 20, v22
	v_cndmask_b32_e32 v10, v6, v10, vcc_lo
	v_add_nc_u32_e32 v13, 19, v22
	s_delay_alu instid0(VALU_DEP_3) | instskip(NEXT) | instid1(VALU_DEP_3)
	v_lshlrev_b64 v[6:7], v7, -1
	v_lshrrev_b64 v[15:16], v22, v[10:11]
	s_delay_alu instid0(VALU_DEP_2) | instskip(NEXT) | instid1(VALU_DEP_2)
	v_not_b32_e32 v14, v7
	v_and_b32_e32 v11, 0x100000, v15
	s_delay_alu instid0(VALU_DEP_4) | instskip(SKIP_1) | instid1(VALU_DEP_4)
	v_not_b32_e32 v23, v6
	v_lshlrev_b64 v[6:7], v13, 1
	v_and_b32_e32 v14, 0, v14
	s_delay_alu instid0(VALU_DEP_4) | instskip(NEXT) | instid1(VALU_DEP_4)
	v_cmp_eq_u64_e64 s0, 0, v[11:12]
	v_and_b32_e32 v13, v10, v23
	v_add_nc_u32_e32 v10, 0xffffff88, v17
	s_delay_alu instid0(VALU_DEP_2) | instskip(NEXT) | instid1(VALU_DEP_2)
	v_cmp_eq_u64_e64 s1, v[13:14], v[6:7]
	v_cndmask_b32_e64 v6, v10, 0xffffff89, vcc_lo
	v_lshrrev_b32_e32 v7, 23, v15
                                        ; implicit-def: $vgpr13
	s_delay_alu instid0(VALU_DEP_3) | instskip(NEXT) | instid1(VALU_DEP_1)
	s_and_b32 vcc_lo, s0, s1
	v_add3_u32 v10, v6, v22, v7
	v_subrev_co_ci_u32_e32 v11, vcc_lo, 0, v15, vcc_lo
	s_mov_b32 s0, exec_lo
	s_delay_alu instid0(VALU_DEP_2) | instskip(NEXT) | instid1(VALU_DEP_2)
	v_add_nc_u32_e32 v14, -1, v10
	v_and_b32_e32 v6, 0xfffff, v11
	s_delay_alu instid0(VALU_DEP_1) | instskip(SKIP_1) | instid1(VALU_DEP_4)
	v_add_co_u32 v6, vcc_lo, v6, v15
	v_add_co_ci_u32_e32 v7, vcc_lo, 0, v16, vcc_lo
	v_cmpx_ne_u32_e32 0, v14
	s_xor_b32 s0, exec_lo, s0
; %bb.23:
	s_delay_alu instid0(VALU_DEP_3) | instskip(SKIP_1) | instid1(VALU_DEP_2)
	v_and_b32_e32 v11, 0x1000000, v6
	v_bfe_u32 v13, v6, 24, 1
	v_cmp_eq_u64_e32 vcc_lo, 0, v[11:12]
	s_delay_alu instid0(VALU_DEP_2)
	v_lshrrev_b64 v[6:7], v13, v[6:7]
	v_cndmask_b32_e32 v13, v10, v14, vcc_lo
; %bb.24:
	s_and_not1_saveexec_b32 s0, s0
; %bb.25:
	s_delay_alu instid0(VALU_DEP_2)
	v_bfe_u32 v13, v6, 23, 1
; %bb.26:
	s_or_b32 exec_lo, exec_lo, s0
	s_delay_alu instid0(VALU_DEP_3) | instskip(NEXT) | instid1(VALU_DEP_2)
	v_lshrrev_b64 v[6:7], 20, v[6:7]
	v_cmp_gt_i32_e32 vcc_lo, 16, v13
	v_cmp_ne_u32_e64 s0, 0, v13
	s_delay_alu instid0(VALU_DEP_3) | instskip(NEXT) | instid1(VALU_DEP_1)
	v_dual_cndmask_b32 v11, 0, v7 :: v_dual_cndmask_b32 v10, 7, v6
                                        ; implicit-def: $vgpr6_vgpr7
	v_cmp_ne_u64_e32 vcc_lo, 0, v[10:11]
	s_delay_alu instid0(VALU_DEP_3) | instskip(NEXT) | instid1(SALU_CYCLE_1)
	s_or_b32 s0, s0, vcc_lo
	s_and_saveexec_b32 s1, s0
	s_delay_alu instid0(SALU_CYCLE_1)
	s_xor_b32 s0, exec_lo, s1
; %bb.27:
	v_min_i32_e32 v6, 15, v13
	s_delay_alu instid0(VALU_DEP_1) | instskip(NEXT) | instid1(VALU_DEP_1)
	v_lshl_or_b32 v0, v6, 3, v0
	v_and_or_b32 v6, v10, 7, v0
                                        ; implicit-def: $vgpr0
; %bb.28:
	s_and_not1_saveexec_b32 s0, s0
; %bb.29:
	v_dual_mov_b32 v7, v1 :: v_dual_mov_b32 v6, v0
; %bb.30:
	s_or_b32 exec_lo, exec_lo, s0
.LBB6_31:
	s_delay_alu instid0(SALU_CYCLE_1)
	s_or_b32 exec_lo, exec_lo, s12
.LBB6_32:
	s_and_not1_saveexec_b32 s0, s5
	s_delay_alu instid0(SALU_CYCLE_1)
	s_or_b32 exec_lo, exec_lo, s0
                                        ; implicit-def: $vgpr7
                                        ; implicit-def: $vgpr10_vgpr11
.LBB6_33:
	s_and_not1_saveexec_b32 s0, s4
; %bb.34:
	v_cmp_eq_u64_e32 vcc_lo, 0, v[10:11]
	v_or_b32_e32 v0, 0x7f, v7
	s_delay_alu instid0(VALU_DEP_1)
	v_cndmask_b32_e32 v6, v0, v6, vcc_lo
; %bb.35:
	s_or_b32 exec_lo, exec_lo, s0
	v_dual_mov_b32 v13, 0 :: v_dual_lshlrev_b32 v0, 16, v1
	s_mov_b32 s0, 0x43e00000
	s_delay_alu instid0(VALU_DEP_1) | instskip(NEXT) | instid1(VALU_DEP_2)
	v_mul_f32_e32 v0, v21, v0
	v_mov_b32_e32 v15, v13
	s_delay_alu instid0(VALU_DEP_2) | instskip(SKIP_1) | instid1(VALU_DEP_1)
	v_minmax_f32 v7, v0, s0, 0xc3e00000
	s_mov_b32 s0, exec_lo
	v_lshrrev_b32_e32 v11, 24, v7
	v_and_b32_e32 v14, 0x7f800000, v7
	v_and_b32_e32 v12, 0x7fffff, v7
	s_delay_alu instid0(VALU_DEP_3) | instskip(NEXT) | instid1(VALU_DEP_1)
	v_and_b32_e32 v0, 0x80, v11
	v_or_b32_e32 v10, 0x7e, v0
	s_delay_alu instid0(VALU_DEP_4)
	v_cmpx_ne_u64_e32 0x7f800000, v[14:15]
	s_xor_b32 s4, exec_lo, s0
	s_cbranch_execz .LBB6_49
; %bb.36:
	v_dual_mov_b32 v15, v13 :: v_dual_and_b32 v14, 0x7fffffff, v7
	s_mov_b32 s0, exec_lo
	s_delay_alu instid0(VALU_DEP_1)
	v_cmpx_gt_u64_e32 0x43e00001, v[14:15]
	s_xor_b32 s5, exec_lo, s0
	s_cbranch_execz .LBB6_48
; %bb.37:
	s_mov_b32 s12, exec_lo
	v_mov_b32_e32 v10, 0
	v_mov_b32_e32 v11, 0
	v_cmpx_ne_u32_e32 0, v7
	s_cbranch_execz .LBB6_47
; %bb.38:
	v_bfe_u32 v7, v7, 23, 8
	s_delay_alu instid0(VALU_DEP_1) | instskip(SKIP_2) | instid1(VALU_DEP_3)
	v_sub_nc_u32_e64 v10, 0x79, v7 clamp
	v_cmp_eq_u32_e32 vcc_lo, 0, v7
	v_add_nc_u32_e32 v7, 0xffffff88, v7
	v_cndmask_b32_e64 v15, v10, 0x78, vcc_lo
	v_or_b32_e32 v10, 0x800000, v12
	s_delay_alu instid0(VALU_DEP_3) | instskip(NEXT) | instid1(VALU_DEP_2)
	v_cndmask_b32_e64 v7, v7, 0xffffff89, vcc_lo
	v_dual_cndmask_b32 v12, v10, v12 :: v_dual_add_nc_u32 v11, 20, v15
	v_add_nc_u32_e32 v22, 19, v15
	s_delay_alu instid0(VALU_DEP_2) | instskip(NEXT) | instid1(VALU_DEP_3)
	v_lshlrev_b64 v[10:11], v11, -1
	v_lshrrev_b64 v[16:17], v15, v[12:13]
	v_mov_b32_e32 v14, 0
	s_delay_alu instid0(VALU_DEP_3) | instskip(NEXT) | instid1(VALU_DEP_3)
	v_not_b32_e32 v23, v11
	v_and_b32_e32 v13, 0x100000, v16
	v_not_b32_e32 v24, v10
	v_lshlrev_b64 v[10:11], v22, 1
	s_delay_alu instid0(VALU_DEP_4) | instskip(NEXT) | instid1(VALU_DEP_4)
	v_and_b32_e32 v23, 0, v23
	v_cmp_eq_u64_e64 s0, 0, v[13:14]
	s_delay_alu instid0(VALU_DEP_4) | instskip(NEXT) | instid1(VALU_DEP_1)
	v_and_b32_e32 v22, v12, v24
	v_cmp_eq_u64_e64 s1, v[22:23], v[10:11]
	v_lshrrev_b32_e32 v10, 23, v16
	s_delay_alu instid0(VALU_DEP_1) | instskip(NEXT) | instid1(VALU_DEP_3)
	v_add3_u32 v12, v7, v15, v10
	s_and_b32 vcc_lo, s0, s1
	s_mov_b32 s0, exec_lo
	v_subrev_co_ci_u32_e32 v11, vcc_lo, 0, v16, vcc_lo
	s_delay_alu instid0(VALU_DEP_2) | instskip(NEXT) | instid1(VALU_DEP_2)
	v_add_nc_u32_e32 v15, -1, v12
	v_and_b32_e32 v7, 0xfffff, v11
	s_delay_alu instid0(VALU_DEP_1) | instskip(SKIP_1) | instid1(VALU_DEP_4)
	v_add_co_u32 v10, vcc_lo, v7, v16
	v_add_co_ci_u32_e32 v11, vcc_lo, 0, v17, vcc_lo
                                        ; implicit-def: $vgpr7
	v_cmpx_ne_u32_e32 0, v15
	s_xor_b32 s0, exec_lo, s0
; %bb.39:
	s_delay_alu instid0(VALU_DEP_3) | instskip(SKIP_1) | instid1(VALU_DEP_2)
	v_and_b32_e32 v13, 0x1000000, v10
	v_bfe_u32 v7, v10, 24, 1
	v_cmp_eq_u64_e32 vcc_lo, 0, v[13:14]
	s_delay_alu instid0(VALU_DEP_2)
	v_lshrrev_b64 v[10:11], v7, v[10:11]
	v_cndmask_b32_e32 v7, v12, v15, vcc_lo
; %bb.40:
	s_and_not1_saveexec_b32 s0, s0
; %bb.41:
	s_delay_alu instid0(VALU_DEP_2)
	v_bfe_u32 v7, v10, 23, 1
; %bb.42:
	s_or_b32 exec_lo, exec_lo, s0
	s_delay_alu instid0(VALU_DEP_3) | instskip(NEXT) | instid1(VALU_DEP_2)
	v_lshrrev_b64 v[10:11], 20, v[10:11]
	v_cmp_gt_i32_e32 vcc_lo, 16, v7
	v_cmp_ne_u32_e64 s0, 0, v7
	s_delay_alu instid0(VALU_DEP_3) | instskip(NEXT) | instid1(VALU_DEP_1)
	v_dual_cndmask_b32 v13, 0, v11 :: v_dual_cndmask_b32 v12, 7, v10
                                        ; implicit-def: $vgpr10_vgpr11
	v_cmp_ne_u64_e32 vcc_lo, 0, v[12:13]
	s_delay_alu instid0(VALU_DEP_3) | instskip(NEXT) | instid1(SALU_CYCLE_1)
	s_or_b32 s0, s0, vcc_lo
	s_and_saveexec_b32 s1, s0
	s_delay_alu instid0(SALU_CYCLE_1)
	s_xor_b32 s0, exec_lo, s1
; %bb.43:
	v_min_i32_e32 v7, 15, v7
	s_delay_alu instid0(VALU_DEP_1) | instskip(NEXT) | instid1(VALU_DEP_1)
	v_lshl_or_b32 v0, v7, 3, v0
	v_and_or_b32 v10, v12, 7, v0
                                        ; implicit-def: $vgpr0
; %bb.44:
	s_and_not1_saveexec_b32 s0, s0
; %bb.45:
	v_dual_mov_b32 v11, v1 :: v_dual_mov_b32 v10, v0
; %bb.46:
	s_or_b32 exec_lo, exec_lo, s0
.LBB6_47:
	s_delay_alu instid0(SALU_CYCLE_1)
	s_or_b32 exec_lo, exec_lo, s12
.LBB6_48:
	s_and_not1_saveexec_b32 s0, s5
	s_delay_alu instid0(SALU_CYCLE_1)
	s_or_b32 exec_lo, exec_lo, s0
                                        ; implicit-def: $vgpr11
                                        ; implicit-def: $vgpr12_vgpr13
.LBB6_49:
	s_and_not1_saveexec_b32 s0, s4
; %bb.50:
	v_cmp_eq_u64_e32 vcc_lo, 0, v[12:13]
	v_or_b32_e32 v0, 0x7f, v11
	s_delay_alu instid0(VALU_DEP_1)
	v_cndmask_b32_e32 v10, v0, v10, vcc_lo
; %bb.51:
	s_or_b32 exec_lo, exec_lo, s0
	v_mov_b32_e32 v12, 0
	v_and_b32_e32 v0, 0xffff0000, v1
	s_mov_b32 s0, 0x43e00000
	s_delay_alu instid0(VALU_DEP_1) | instskip(NEXT) | instid1(VALU_DEP_1)
	v_dual_mov_b32 v15, v12 :: v_dual_mul_f32 v0, v21, v0
	v_minmax_f32 v13, v0, s0, 0xc3e00000
	s_mov_b32 s0, exec_lo
	s_delay_alu instid0(VALU_DEP_1) | instskip(SKIP_2) | instid1(VALU_DEP_3)
	v_lshrrev_b32_e32 v1, 24, v13
	v_and_b32_e32 v14, 0x7f800000, v13
	v_and_b32_e32 v11, 0x7fffff, v13
	;; [unrolled: 1-line block ×3, first 2 shown]
	s_delay_alu instid0(VALU_DEP_1) | instskip(NEXT) | instid1(VALU_DEP_4)
	v_or_b32_e32 v0, 0x7e, v7
	v_cmpx_ne_u64_e32 0x7f800000, v[14:15]
	s_xor_b32 s4, exec_lo, s0
	s_cbranch_execz .LBB6_65
; %bb.52:
	v_dual_mov_b32 v15, v12 :: v_dual_and_b32 v14, 0x7fffffff, v13
	s_mov_b32 s0, exec_lo
	s_delay_alu instid0(VALU_DEP_1)
	v_cmpx_gt_u64_e32 0x43e00001, v[14:15]
	s_xor_b32 s5, exec_lo, s0
	s_cbranch_execz .LBB6_64
; %bb.53:
	s_mov_b32 s12, exec_lo
	v_mov_b32_e32 v0, 0
	v_mov_b32_e32 v1, 0
	v_cmpx_ne_u32_e32 0, v13
	s_cbranch_execz .LBB6_63
; %bb.54:
	v_bfe_u32 v22, v13, 23, 8
	v_mov_b32_e32 v13, 0
	s_delay_alu instid0(VALU_DEP_2) | instskip(SKIP_1) | instid1(VALU_DEP_2)
	v_sub_nc_u32_e64 v0, 0x79, v22 clamp
	v_cmp_eq_u32_e32 vcc_lo, 0, v22
	v_cndmask_b32_e64 v23, v0, 0x78, vcc_lo
	v_or_b32_e32 v0, 0x800000, v11
	s_delay_alu instid0(VALU_DEP_2) | instskip(NEXT) | instid1(VALU_DEP_2)
	v_add_nc_u32_e32 v1, 20, v23
	v_cndmask_b32_e32 v11, v0, v11, vcc_lo
	v_add_nc_u32_e32 v14, 19, v23
	s_delay_alu instid0(VALU_DEP_3) | instskip(NEXT) | instid1(VALU_DEP_3)
	v_lshlrev_b64 v[0:1], v1, -1
	v_lshrrev_b64 v[16:17], v23, v[11:12]
	s_delay_alu instid0(VALU_DEP_2) | instskip(NEXT) | instid1(VALU_DEP_3)
	v_not_b32_e32 v15, v1
	v_not_b32_e32 v24, v0
	v_lshlrev_b64 v[0:1], v14, 1
	s_delay_alu instid0(VALU_DEP_4) | instskip(NEXT) | instid1(VALU_DEP_4)
	v_and_b32_e32 v12, 0x100000, v16
	v_and_b32_e32 v15, 0, v15
	s_delay_alu instid0(VALU_DEP_4) | instskip(SKIP_1) | instid1(VALU_DEP_4)
	v_and_b32_e32 v14, v11, v24
	v_add_nc_u32_e32 v11, 0xffffff88, v22
	v_cmp_eq_u64_e64 s0, 0, v[12:13]
	s_delay_alu instid0(VALU_DEP_3) | instskip(NEXT) | instid1(VALU_DEP_3)
	v_cmp_eq_u64_e64 s1, v[14:15], v[0:1]
	v_cndmask_b32_e64 v0, v11, 0xffffff89, vcc_lo
	v_lshrrev_b32_e32 v1, 23, v16
                                        ; implicit-def: $vgpr14
	s_delay_alu instid0(VALU_DEP_3) | instskip(NEXT) | instid1(VALU_DEP_1)
	s_and_b32 vcc_lo, s0, s1
	v_add3_u32 v11, v0, v23, v1
	v_subrev_co_ci_u32_e32 v12, vcc_lo, 0, v16, vcc_lo
	s_mov_b32 s0, exec_lo
	s_delay_alu instid0(VALU_DEP_2) | instskip(NEXT) | instid1(VALU_DEP_2)
	v_add_nc_u32_e32 v15, -1, v11
	v_and_b32_e32 v0, 0xfffff, v12
	s_delay_alu instid0(VALU_DEP_1) | instskip(SKIP_1) | instid1(VALU_DEP_4)
	v_add_co_u32 v0, vcc_lo, v0, v16
	v_add_co_ci_u32_e32 v1, vcc_lo, 0, v17, vcc_lo
	v_cmpx_ne_u32_e32 0, v15
	s_xor_b32 s0, exec_lo, s0
; %bb.55:
	s_delay_alu instid0(VALU_DEP_3) | instskip(SKIP_1) | instid1(VALU_DEP_2)
	v_and_b32_e32 v12, 0x1000000, v0
	v_bfe_u32 v14, v0, 24, 1
	v_cmp_eq_u64_e32 vcc_lo, 0, v[12:13]
	s_delay_alu instid0(VALU_DEP_2)
	v_lshrrev_b64 v[0:1], v14, v[0:1]
	v_cndmask_b32_e32 v14, v11, v15, vcc_lo
; %bb.56:
	s_and_not1_saveexec_b32 s0, s0
; %bb.57:
	s_delay_alu instid0(VALU_DEP_2)
	v_bfe_u32 v14, v0, 23, 1
; %bb.58:
	s_or_b32 exec_lo, exec_lo, s0
	s_delay_alu instid0(VALU_DEP_3) | instskip(NEXT) | instid1(VALU_DEP_2)
	v_lshrrev_b64 v[0:1], 20, v[0:1]
	v_cmp_gt_i32_e32 vcc_lo, 16, v14
	v_cmp_ne_u32_e64 s0, 0, v14
	s_delay_alu instid0(VALU_DEP_3) | instskip(NEXT) | instid1(VALU_DEP_1)
	v_dual_cndmask_b32 v12, 0, v1 :: v_dual_cndmask_b32 v11, 7, v0
                                        ; implicit-def: $vgpr0_vgpr1
	v_cmp_ne_u64_e32 vcc_lo, 0, v[11:12]
	s_delay_alu instid0(VALU_DEP_3) | instskip(NEXT) | instid1(SALU_CYCLE_1)
	s_or_b32 s0, s0, vcc_lo
	s_and_saveexec_b32 s1, s0
	s_delay_alu instid0(SALU_CYCLE_1)
	s_xor_b32 s0, exec_lo, s1
; %bb.59:
	v_min_i32_e32 v0, 15, v14
	s_delay_alu instid0(VALU_DEP_1) | instskip(NEXT) | instid1(VALU_DEP_1)
	v_lshl_or_b32 v0, v0, 3, v7
                                        ; implicit-def: $vgpr7
	v_and_or_b32 v0, v11, 7, v0
; %bb.60:
	s_and_not1_saveexec_b32 s0, s0
; %bb.61:
	v_dual_mov_b32 v0, v7 :: v_dual_mov_b32 v1, v8
; %bb.62:
	s_or_b32 exec_lo, exec_lo, s0
.LBB6_63:
	s_delay_alu instid0(SALU_CYCLE_1)
	s_or_b32 exec_lo, exec_lo, s12
.LBB6_64:
	s_and_not1_saveexec_b32 s0, s5
	s_delay_alu instid0(SALU_CYCLE_1)
	s_or_b32 exec_lo, exec_lo, s0
                                        ; implicit-def: $vgpr1
                                        ; implicit-def: $vgpr11_vgpr12
.LBB6_65:
	s_and_not1_saveexec_b32 s0, s4
; %bb.66:
	v_cmp_eq_u64_e32 vcc_lo, 0, v[11:12]
	v_or_b32_e32 v1, 0x7f, v1
	s_delay_alu instid0(VALU_DEP_1)
	v_cndmask_b32_e32 v0, v1, v0, vcc_lo
; %bb.67:
	s_or_b32 exec_lo, exec_lo, s0
	v_dual_mov_b32 v14, 0 :: v_dual_lshlrev_b32 v1, 16, v2
	s_mov_b32 s0, 0x43e00000
	s_delay_alu instid0(VALU_DEP_1) | instskip(NEXT) | instid1(VALU_DEP_1)
	v_dual_mul_f32 v1, v21, v1 :: v_dual_mov_b32 v16, v14
	v_minmax_f32 v7, v1, s0, 0xc3e00000
	s_mov_b32 s0, exec_lo
	s_delay_alu instid0(VALU_DEP_1) | instskip(SKIP_2) | instid1(VALU_DEP_3)
	v_lshrrev_b32_e32 v12, 24, v7
	v_and_b32_e32 v15, 0x7f800000, v7
	v_and_b32_e32 v13, 0x7fffff, v7
	;; [unrolled: 1-line block ×3, first 2 shown]
	s_delay_alu instid0(VALU_DEP_1) | instskip(NEXT) | instid1(VALU_DEP_4)
	v_or_b32_e32 v11, 0x7e, v1
	v_cmpx_ne_u64_e32 0x7f800000, v[15:16]
	s_xor_b32 s4, exec_lo, s0
	s_cbranch_execz .LBB6_81
; %bb.68:
	v_dual_mov_b32 v16, v14 :: v_dual_and_b32 v15, 0x7fffffff, v7
	s_mov_b32 s0, exec_lo
	s_delay_alu instid0(VALU_DEP_1)
	v_cmpx_gt_u64_e32 0x43e00001, v[15:16]
	s_xor_b32 s5, exec_lo, s0
	s_cbranch_execz .LBB6_80
; %bb.69:
	s_mov_b32 s12, exec_lo
	v_mov_b32_e32 v11, 0
	v_mov_b32_e32 v12, 0
	v_cmpx_ne_u32_e32 0, v7
	s_cbranch_execz .LBB6_79
; %bb.70:
	v_bfe_u32 v7, v7, 23, 8
	v_mov_b32_e32 v15, 0
	s_delay_alu instid0(VALU_DEP_2) | instskip(SKIP_2) | instid1(VALU_DEP_3)
	v_sub_nc_u32_e64 v11, 0x79, v7 clamp
	v_cmp_eq_u32_e32 vcc_lo, 0, v7
	v_add_nc_u32_e32 v7, 0xffffff88, v7
	v_cndmask_b32_e64 v24, v11, 0x78, vcc_lo
	v_or_b32_e32 v11, 0x800000, v13
	s_delay_alu instid0(VALU_DEP_3) | instskip(NEXT) | instid1(VALU_DEP_2)
	v_cndmask_b32_e64 v7, v7, 0xffffff89, vcc_lo
	v_dual_cndmask_b32 v13, v11, v13 :: v_dual_add_nc_u32 v12, 20, v24
	v_add_nc_u32_e32 v16, 19, v24
	s_delay_alu instid0(VALU_DEP_2) | instskip(NEXT) | instid1(VALU_DEP_3)
	v_lshlrev_b64 v[11:12], v12, -1
	v_lshrrev_b64 v[22:23], v24, v[13:14]
	s_delay_alu instid0(VALU_DEP_2) | instskip(NEXT) | instid1(VALU_DEP_3)
	v_not_b32_e32 v17, v12
	v_not_b32_e32 v25, v11
	v_lshlrev_b64 v[11:12], v16, 1
	s_delay_alu instid0(VALU_DEP_4) | instskip(NEXT) | instid1(VALU_DEP_4)
	v_and_b32_e32 v14, 0x100000, v22
	v_and_b32_e32 v17, 0, v17
	s_delay_alu instid0(VALU_DEP_4) | instskip(NEXT) | instid1(VALU_DEP_3)
	v_and_b32_e32 v16, v13, v25
	v_cmp_eq_u64_e64 s0, 0, v[14:15]
	s_delay_alu instid0(VALU_DEP_2) | instskip(SKIP_1) | instid1(VALU_DEP_1)
	v_cmp_eq_u64_e64 s1, v[16:17], v[11:12]
	v_lshrrev_b32_e32 v11, 23, v22
	v_add3_u32 v13, v7, v24, v11
	s_delay_alu instid0(VALU_DEP_3) | instskip(SKIP_2) | instid1(VALU_DEP_2)
	s_and_b32 vcc_lo, s0, s1
	s_mov_b32 s0, exec_lo
	v_subrev_co_ci_u32_e32 v12, vcc_lo, 0, v22, vcc_lo
	v_add_nc_u32_e32 v16, -1, v13
	s_delay_alu instid0(VALU_DEP_2) | instskip(NEXT) | instid1(VALU_DEP_1)
	v_and_b32_e32 v7, 0xfffff, v12
	v_add_co_u32 v11, vcc_lo, v7, v22
	v_add_co_ci_u32_e32 v12, vcc_lo, 0, v23, vcc_lo
                                        ; implicit-def: $vgpr7
	s_delay_alu instid0(VALU_DEP_4)
	v_cmpx_ne_u32_e32 0, v16
	s_xor_b32 s0, exec_lo, s0
; %bb.71:
	s_delay_alu instid0(VALU_DEP_3) | instskip(SKIP_1) | instid1(VALU_DEP_2)
	v_and_b32_e32 v14, 0x1000000, v11
	v_bfe_u32 v7, v11, 24, 1
	v_cmp_eq_u64_e32 vcc_lo, 0, v[14:15]
	s_delay_alu instid0(VALU_DEP_2)
	v_lshrrev_b64 v[11:12], v7, v[11:12]
	v_cndmask_b32_e32 v7, v13, v16, vcc_lo
; %bb.72:
	s_and_not1_saveexec_b32 s0, s0
; %bb.73:
	s_delay_alu instid0(VALU_DEP_2)
	v_bfe_u32 v7, v11, 23, 1
; %bb.74:
	s_or_b32 exec_lo, exec_lo, s0
	s_delay_alu instid0(VALU_DEP_3) | instskip(NEXT) | instid1(VALU_DEP_2)
	v_lshrrev_b64 v[11:12], 20, v[11:12]
	v_cmp_gt_i32_e32 vcc_lo, 16, v7
	v_cmp_ne_u32_e64 s0, 0, v7
	s_delay_alu instid0(VALU_DEP_3) | instskip(NEXT) | instid1(VALU_DEP_1)
	v_dual_cndmask_b32 v14, 0, v12 :: v_dual_cndmask_b32 v13, 7, v11
                                        ; implicit-def: $vgpr11_vgpr12
	v_cmp_ne_u64_e32 vcc_lo, 0, v[13:14]
	s_delay_alu instid0(VALU_DEP_3) | instskip(NEXT) | instid1(SALU_CYCLE_1)
	s_or_b32 s0, s0, vcc_lo
	s_and_saveexec_b32 s1, s0
	s_delay_alu instid0(SALU_CYCLE_1)
	s_xor_b32 s0, exec_lo, s1
; %bb.75:
	v_min_i32_e32 v7, 15, v7
	s_delay_alu instid0(VALU_DEP_1) | instskip(NEXT) | instid1(VALU_DEP_1)
	v_lshl_or_b32 v1, v7, 3, v1
	v_and_or_b32 v11, v13, 7, v1
                                        ; implicit-def: $vgpr1
; %bb.76:
	s_and_not1_saveexec_b32 s0, s0
; %bb.77:
	v_dual_mov_b32 v12, v2 :: v_dual_mov_b32 v11, v1
; %bb.78:
	s_or_b32 exec_lo, exec_lo, s0
.LBB6_79:
	s_delay_alu instid0(SALU_CYCLE_1)
	s_or_b32 exec_lo, exec_lo, s12
.LBB6_80:
	s_and_not1_saveexec_b32 s0, s5
	s_delay_alu instid0(SALU_CYCLE_1)
	s_or_b32 exec_lo, exec_lo, s0
                                        ; implicit-def: $vgpr12
                                        ; implicit-def: $vgpr13_vgpr14
.LBB6_81:
	s_and_not1_saveexec_b32 s0, s4
; %bb.82:
	v_cmp_eq_u64_e32 vcc_lo, 0, v[13:14]
	v_or_b32_e32 v1, 0x7f, v12
	s_delay_alu instid0(VALU_DEP_1)
	v_cndmask_b32_e32 v11, v1, v11, vcc_lo
; %bb.83:
	s_or_b32 exec_lo, exec_lo, s0
	v_mov_b32_e32 v13, 0
	v_and_b32_e32 v1, 0xffff0000, v2
	s_mov_b32 s0, 0x43e00000
	s_delay_alu instid0(VALU_DEP_2) | instskip(NEXT) | instid1(VALU_DEP_2)
	v_mov_b32_e32 v16, v13
	v_mul_f32_e32 v1, v21, v1
	s_delay_alu instid0(VALU_DEP_1) | instskip(SKIP_1) | instid1(VALU_DEP_1)
	v_minmax_f32 v14, v1, s0, 0xc3e00000
	s_mov_b32 s0, exec_lo
	v_and_b32_e32 v12, 0x7fffff, v14
	v_lshrrev_b32_e32 v2, 24, v14
	v_and_b32_e32 v15, 0x7f800000, v14
	s_delay_alu instid0(VALU_DEP_2) | instskip(NEXT) | instid1(VALU_DEP_1)
	v_and_b32_e32 v7, 0x80, v2
	v_or_b32_e32 v1, 0x7e, v7
	s_delay_alu instid0(VALU_DEP_3)
	v_cmpx_ne_u64_e32 0x7f800000, v[15:16]
	s_xor_b32 s4, exec_lo, s0
	s_cbranch_execz .LBB6_97
; %bb.84:
	v_dual_mov_b32 v16, v13 :: v_dual_and_b32 v15, 0x7fffffff, v14
	s_mov_b32 s0, exec_lo
	s_delay_alu instid0(VALU_DEP_1)
	v_cmpx_gt_u64_e32 0x43e00001, v[15:16]
	s_xor_b32 s5, exec_lo, s0
	s_cbranch_execz .LBB6_96
; %bb.85:
	s_mov_b32 s12, exec_lo
	v_mov_b32_e32 v1, 0
	v_mov_b32_e32 v2, 0
	v_cmpx_ne_u32_e32 0, v14
	s_cbranch_execz .LBB6_95
; %bb.86:
	v_bfe_u32 v17, v14, 23, 8
	v_mov_b32_e32 v14, 0
	s_delay_alu instid0(VALU_DEP_2) | instskip(SKIP_1) | instid1(VALU_DEP_2)
	v_sub_nc_u32_e64 v1, 0x79, v17 clamp
	v_cmp_eq_u32_e32 vcc_lo, 0, v17
	v_cndmask_b32_e64 v24, v1, 0x78, vcc_lo
	v_or_b32_e32 v1, 0x800000, v12
	s_delay_alu instid0(VALU_DEP_2) | instskip(NEXT) | instid1(VALU_DEP_2)
	v_add_nc_u32_e32 v2, 20, v24
	v_cndmask_b32_e32 v12, v1, v12, vcc_lo
	v_add_nc_u32_e32 v15, 19, v24
	s_delay_alu instid0(VALU_DEP_3) | instskip(NEXT) | instid1(VALU_DEP_3)
	v_lshlrev_b64 v[1:2], v2, -1
	v_lshrrev_b64 v[22:23], v24, v[12:13]
	s_delay_alu instid0(VALU_DEP_2) | instskip(NEXT) | instid1(VALU_DEP_3)
	v_not_b32_e32 v16, v2
	v_not_b32_e32 v25, v1
	v_lshlrev_b64 v[1:2], v15, 1
	s_delay_alu instid0(VALU_DEP_4) | instskip(NEXT) | instid1(VALU_DEP_4)
	v_and_b32_e32 v13, 0x100000, v22
	v_and_b32_e32 v16, 0, v16
	s_delay_alu instid0(VALU_DEP_4) | instskip(SKIP_1) | instid1(VALU_DEP_4)
	v_and_b32_e32 v15, v12, v25
	v_add_nc_u32_e32 v12, 0xffffff88, v17
	v_cmp_eq_u64_e64 s0, 0, v[13:14]
	s_delay_alu instid0(VALU_DEP_3) | instskip(NEXT) | instid1(VALU_DEP_3)
	v_cmp_eq_u64_e64 s1, v[15:16], v[1:2]
	v_cndmask_b32_e64 v1, v12, 0xffffff89, vcc_lo
	v_lshrrev_b32_e32 v2, 23, v22
                                        ; implicit-def: $vgpr15
	s_delay_alu instid0(VALU_DEP_3) | instskip(NEXT) | instid1(VALU_DEP_1)
	s_and_b32 vcc_lo, s0, s1
	v_add3_u32 v12, v1, v24, v2
	v_subrev_co_ci_u32_e32 v13, vcc_lo, 0, v22, vcc_lo
	s_mov_b32 s0, exec_lo
	s_delay_alu instid0(VALU_DEP_2) | instskip(NEXT) | instid1(VALU_DEP_2)
	v_add_nc_u32_e32 v16, -1, v12
	v_and_b32_e32 v1, 0xfffff, v13
	s_delay_alu instid0(VALU_DEP_1) | instskip(SKIP_1) | instid1(VALU_DEP_4)
	v_add_co_u32 v1, vcc_lo, v1, v22
	v_add_co_ci_u32_e32 v2, vcc_lo, 0, v23, vcc_lo
	v_cmpx_ne_u32_e32 0, v16
	s_xor_b32 s0, exec_lo, s0
; %bb.87:
	s_delay_alu instid0(VALU_DEP_3) | instskip(SKIP_1) | instid1(VALU_DEP_2)
	v_and_b32_e32 v13, 0x1000000, v1
	v_bfe_u32 v15, v1, 24, 1
	v_cmp_eq_u64_e32 vcc_lo, 0, v[13:14]
	s_delay_alu instid0(VALU_DEP_2)
	v_lshrrev_b64 v[1:2], v15, v[1:2]
	v_cndmask_b32_e32 v15, v12, v16, vcc_lo
; %bb.88:
	s_and_not1_saveexec_b32 s0, s0
; %bb.89:
	s_delay_alu instid0(VALU_DEP_2)
	v_bfe_u32 v15, v1, 23, 1
; %bb.90:
	s_or_b32 exec_lo, exec_lo, s0
	s_delay_alu instid0(VALU_DEP_3) | instskip(NEXT) | instid1(VALU_DEP_2)
	v_lshrrev_b64 v[1:2], 20, v[1:2]
	v_cmp_gt_i32_e32 vcc_lo, 16, v15
	v_cmp_ne_u32_e64 s0, 0, v15
	s_delay_alu instid0(VALU_DEP_3) | instskip(NEXT) | instid1(VALU_DEP_1)
	v_dual_cndmask_b32 v13, 0, v2 :: v_dual_cndmask_b32 v12, 7, v1
                                        ; implicit-def: $vgpr1_vgpr2
	v_cmp_ne_u64_e32 vcc_lo, 0, v[12:13]
	s_delay_alu instid0(VALU_DEP_3) | instskip(NEXT) | instid1(SALU_CYCLE_1)
	s_or_b32 s0, s0, vcc_lo
	s_and_saveexec_b32 s1, s0
	s_delay_alu instid0(SALU_CYCLE_1)
	s_xor_b32 s0, exec_lo, s1
; %bb.91:
	v_min_i32_e32 v1, 15, v15
	s_delay_alu instid0(VALU_DEP_1) | instskip(NEXT) | instid1(VALU_DEP_1)
	v_lshl_or_b32 v1, v1, 3, v7
                                        ; implicit-def: $vgpr7
	v_and_or_b32 v1, v12, 7, v1
; %bb.92:
	s_and_not1_saveexec_b32 s0, s0
; %bb.93:
	v_dual_mov_b32 v1, v7 :: v_dual_mov_b32 v2, v8
; %bb.94:
	s_or_b32 exec_lo, exec_lo, s0
.LBB6_95:
	s_delay_alu instid0(SALU_CYCLE_1)
	s_or_b32 exec_lo, exec_lo, s12
.LBB6_96:
	s_and_not1_saveexec_b32 s0, s5
	s_delay_alu instid0(SALU_CYCLE_1)
	s_or_b32 exec_lo, exec_lo, s0
                                        ; implicit-def: $vgpr2
                                        ; implicit-def: $vgpr12_vgpr13
.LBB6_97:
	s_and_not1_saveexec_b32 s0, s4
; %bb.98:
	v_cmp_eq_u64_e32 vcc_lo, 0, v[12:13]
	v_or_b32_e32 v2, 0x7f, v2
	s_delay_alu instid0(VALU_DEP_1)
	v_cndmask_b32_e32 v1, v2, v1, vcc_lo
; %bb.99:
	s_or_b32 exec_lo, exec_lo, s0
	v_dual_mov_b32 v15, 0 :: v_dual_lshlrev_b32 v2, 16, v3
	s_mov_b32 s0, 0x43e00000
	s_delay_alu instid0(VALU_DEP_1) | instskip(NEXT) | instid1(VALU_DEP_1)
	v_dual_mul_f32 v2, v21, v2 :: v_dual_mov_b32 v17, v15
	v_minmax_f32 v7, v2, s0, 0xc3e00000
	s_mov_b32 s0, exec_lo
	s_delay_alu instid0(VALU_DEP_1) | instskip(SKIP_2) | instid1(VALU_DEP_3)
	v_lshrrev_b32_e32 v13, 24, v7
	v_and_b32_e32 v16, 0x7f800000, v7
	v_and_b32_e32 v14, 0x7fffff, v7
	;; [unrolled: 1-line block ×3, first 2 shown]
	s_delay_alu instid0(VALU_DEP_1) | instskip(NEXT) | instid1(VALU_DEP_4)
	v_or_b32_e32 v12, 0x7e, v2
	v_cmpx_ne_u64_e32 0x7f800000, v[16:17]
	s_xor_b32 s4, exec_lo, s0
	s_cbranch_execz .LBB6_113
; %bb.100:
	v_dual_mov_b32 v17, v15 :: v_dual_and_b32 v16, 0x7fffffff, v7
	s_mov_b32 s0, exec_lo
	s_delay_alu instid0(VALU_DEP_1)
	v_cmpx_gt_u64_e32 0x43e00001, v[16:17]
	s_xor_b32 s5, exec_lo, s0
	s_cbranch_execz .LBB6_112
; %bb.101:
	s_mov_b32 s12, exec_lo
	v_mov_b32_e32 v12, 0
	v_mov_b32_e32 v13, 0
	v_cmpx_ne_u32_e32 0, v7
	s_cbranch_execz .LBB6_111
; %bb.102:
	v_bfe_u32 v7, v7, 23, 8
	s_delay_alu instid0(VALU_DEP_1) | instskip(SKIP_2) | instid1(VALU_DEP_3)
	v_sub_nc_u32_e64 v12, 0x79, v7 clamp
	v_cmp_eq_u32_e32 vcc_lo, 0, v7
	v_add_nc_u32_e32 v7, 0xffffff88, v7
	v_cndmask_b32_e64 v17, v12, 0x78, vcc_lo
	v_or_b32_e32 v12, 0x800000, v14
	s_delay_alu instid0(VALU_DEP_3) | instskip(NEXT) | instid1(VALU_DEP_2)
	v_cndmask_b32_e64 v7, v7, 0xffffff89, vcc_lo
	v_dual_cndmask_b32 v14, v12, v14 :: v_dual_add_nc_u32 v13, 20, v17
	v_add_nc_u32_e32 v24, 19, v17
	s_delay_alu instid0(VALU_DEP_2) | instskip(NEXT) | instid1(VALU_DEP_3)
	v_lshlrev_b64 v[12:13], v13, -1
	v_lshrrev_b64 v[22:23], v17, v[14:15]
	v_mov_b32_e32 v16, 0
	s_delay_alu instid0(VALU_DEP_3) | instskip(NEXT) | instid1(VALU_DEP_3)
	v_not_b32_e32 v25, v13
	v_and_b32_e32 v15, 0x100000, v22
	v_not_b32_e32 v26, v12
	v_lshlrev_b64 v[12:13], v24, 1
	s_delay_alu instid0(VALU_DEP_4) | instskip(NEXT) | instid1(VALU_DEP_4)
	v_and_b32_e32 v25, 0, v25
	v_cmp_eq_u64_e64 s0, 0, v[15:16]
	s_delay_alu instid0(VALU_DEP_4) | instskip(NEXT) | instid1(VALU_DEP_1)
	v_and_b32_e32 v24, v14, v26
	v_cmp_eq_u64_e64 s1, v[24:25], v[12:13]
	v_lshrrev_b32_e32 v12, 23, v22
	s_delay_alu instid0(VALU_DEP_1) | instskip(NEXT) | instid1(VALU_DEP_3)
	v_add3_u32 v14, v7, v17, v12
	s_and_b32 vcc_lo, s0, s1
	s_mov_b32 s0, exec_lo
	v_subrev_co_ci_u32_e32 v13, vcc_lo, 0, v22, vcc_lo
	s_delay_alu instid0(VALU_DEP_2) | instskip(NEXT) | instid1(VALU_DEP_2)
	v_add_nc_u32_e32 v17, -1, v14
	v_and_b32_e32 v7, 0xfffff, v13
	s_delay_alu instid0(VALU_DEP_1) | instskip(SKIP_1) | instid1(VALU_DEP_4)
	v_add_co_u32 v12, vcc_lo, v7, v22
	v_add_co_ci_u32_e32 v13, vcc_lo, 0, v23, vcc_lo
                                        ; implicit-def: $vgpr7
	v_cmpx_ne_u32_e32 0, v17
	s_xor_b32 s0, exec_lo, s0
; %bb.103:
	s_delay_alu instid0(VALU_DEP_3) | instskip(SKIP_1) | instid1(VALU_DEP_2)
	v_and_b32_e32 v15, 0x1000000, v12
	v_bfe_u32 v7, v12, 24, 1
	v_cmp_eq_u64_e32 vcc_lo, 0, v[15:16]
	s_delay_alu instid0(VALU_DEP_2)
	v_lshrrev_b64 v[12:13], v7, v[12:13]
	v_cndmask_b32_e32 v7, v14, v17, vcc_lo
; %bb.104:
	s_and_not1_saveexec_b32 s0, s0
; %bb.105:
	s_delay_alu instid0(VALU_DEP_2)
	v_bfe_u32 v7, v12, 23, 1
; %bb.106:
	s_or_b32 exec_lo, exec_lo, s0
	s_delay_alu instid0(VALU_DEP_3) | instskip(NEXT) | instid1(VALU_DEP_2)
	v_lshrrev_b64 v[12:13], 20, v[12:13]
	v_cmp_gt_i32_e32 vcc_lo, 16, v7
	v_cmp_ne_u32_e64 s0, 0, v7
	s_delay_alu instid0(VALU_DEP_3) | instskip(NEXT) | instid1(VALU_DEP_1)
	v_dual_cndmask_b32 v15, 0, v13 :: v_dual_cndmask_b32 v14, 7, v12
                                        ; implicit-def: $vgpr12_vgpr13
	v_cmp_ne_u64_e32 vcc_lo, 0, v[14:15]
	s_delay_alu instid0(VALU_DEP_3) | instskip(NEXT) | instid1(SALU_CYCLE_1)
	s_or_b32 s0, s0, vcc_lo
	s_and_saveexec_b32 s1, s0
	s_delay_alu instid0(SALU_CYCLE_1)
	s_xor_b32 s0, exec_lo, s1
; %bb.107:
	v_min_i32_e32 v7, 15, v7
	s_delay_alu instid0(VALU_DEP_1) | instskip(NEXT) | instid1(VALU_DEP_1)
	v_lshl_or_b32 v2, v7, 3, v2
	v_and_or_b32 v12, v14, 7, v2
                                        ; implicit-def: $vgpr2
; %bb.108:
	s_and_not1_saveexec_b32 s0, s0
; %bb.109:
	v_dual_mov_b32 v13, v3 :: v_dual_mov_b32 v12, v2
; %bb.110:
	s_or_b32 exec_lo, exec_lo, s0
.LBB6_111:
	s_delay_alu instid0(SALU_CYCLE_1)
	s_or_b32 exec_lo, exec_lo, s12
.LBB6_112:
	s_and_not1_saveexec_b32 s0, s5
	s_delay_alu instid0(SALU_CYCLE_1)
	s_or_b32 exec_lo, exec_lo, s0
                                        ; implicit-def: $vgpr13
                                        ; implicit-def: $vgpr14_vgpr15
.LBB6_113:
	s_and_not1_saveexec_b32 s0, s4
; %bb.114:
	v_cmp_eq_u64_e32 vcc_lo, 0, v[14:15]
	v_or_b32_e32 v2, 0x7f, v13
	s_delay_alu instid0(VALU_DEP_1)
	v_cndmask_b32_e32 v12, v2, v12, vcc_lo
; %bb.115:
	s_or_b32 exec_lo, exec_lo, s0
	v_and_b32_e32 v2, 0xffff0000, v3
	s_mov_b32 s0, 0x43e00000
	s_delay_alu instid0(VALU_DEP_1) | instskip(NEXT) | instid1(VALU_DEP_1)
	v_mul_f32_e32 v2, v21, v2
	v_minmax_f32 v3, v2, s0, 0xc3e00000
	s_delay_alu instid0(VALU_DEP_1) | instskip(SKIP_1) | instid1(VALU_DEP_2)
	v_dual_mov_b32 v16, 0 :: v_dual_and_b32 v15, 0x7fffff, v3
	v_lshrrev_b32_e32 v7, 24, v3
	v_dual_mov_b32 v14, v16 :: v_dual_and_b32 v13, 0x7f800000, v3
	s_delay_alu instid0(VALU_DEP_2) | instskip(NEXT) | instid1(VALU_DEP_2)
	v_and_b32_e32 v2, 0x80, v7
	v_cmp_ne_u64_e32 vcc_lo, 0x7f800000, v[13:14]
	s_delay_alu instid0(VALU_DEP_2) | instskip(SKIP_1) | instid1(SALU_CYCLE_1)
	v_or_b32_e32 v13, 0x7e, v2
	s_and_saveexec_b32 s0, vcc_lo
	s_xor_b32 s4, exec_lo, s0
	s_cbranch_execz .LBB6_129
; %bb.116:
	v_dual_mov_b32 v22, v16 :: v_dual_and_b32 v21, 0x7fffffff, v3
	s_mov_b32 s0, exec_lo
	s_delay_alu instid0(VALU_DEP_1)
	v_cmpx_gt_u64_e32 0x43e00001, v[21:22]
	s_xor_b32 s5, exec_lo, s0
	s_cbranch_execz .LBB6_128
; %bb.117:
	s_mov_b32 s12, exec_lo
	v_mov_b32_e32 v13, 0
	v_mov_b32_e32 v14, 0
	v_cmpx_ne_u32_e32 0, v3
	s_cbranch_execz .LBB6_127
; %bb.118:
	v_bfe_u32 v3, v3, 23, 8
	v_or_b32_e32 v13, 0x800000, v15
	v_mov_b32_e32 v17, 0
	s_delay_alu instid0(VALU_DEP_3) | instskip(SKIP_2) | instid1(VALU_DEP_3)
	v_sub_nc_u32_e64 v7, 0x79, v3 clamp
	v_cmp_eq_u32_e32 vcc_lo, 0, v3
	v_add_nc_u32_e32 v3, 0xffffff88, v3
	v_cndmask_b32_e64 v7, v7, 0x78, vcc_lo
	v_cndmask_b32_e32 v15, v13, v15, vcc_lo
	s_delay_alu instid0(VALU_DEP_3) | instskip(NEXT) | instid1(VALU_DEP_3)
	v_cndmask_b32_e64 v3, v3, 0xffffff89, vcc_lo
	v_add_nc_u32_e32 v14, 20, v7
	v_add_nc_u32_e32 v23, 19, v7
	s_delay_alu instid0(VALU_DEP_4) | instskip(NEXT) | instid1(VALU_DEP_3)
	v_lshrrev_b64 v[21:22], v7, v[15:16]
	v_lshlrev_b64 v[13:14], v14, -1
	s_delay_alu instid0(VALU_DEP_2) | instskip(NEXT) | instid1(VALU_DEP_2)
	v_and_b32_e32 v16, 0x100000, v21
	v_not_b32_e32 v24, v14
	s_delay_alu instid0(VALU_DEP_3) | instskip(SKIP_1) | instid1(VALU_DEP_4)
	v_not_b32_e32 v25, v13
	v_lshlrev_b64 v[13:14], v23, 1
	v_cmp_eq_u64_e64 s0, 0, v[16:17]
	s_delay_alu instid0(VALU_DEP_4) | instskip(NEXT) | instid1(VALU_DEP_4)
	v_and_b32_e32 v24, 0, v24
	v_and_b32_e32 v23, v15, v25
	s_delay_alu instid0(VALU_DEP_1) | instskip(SKIP_1) | instid1(VALU_DEP_1)
	v_cmp_eq_u64_e64 s1, v[23:24], v[13:14]
	v_lshrrev_b32_e32 v13, 23, v21
	v_add3_u32 v7, v3, v7, v13
	s_delay_alu instid0(VALU_DEP_3) | instskip(SKIP_2) | instid1(VALU_DEP_2)
	s_and_b32 vcc_lo, s0, s1
	s_mov_b32 s0, exec_lo
	v_subrev_co_ci_u32_e32 v14, vcc_lo, 0, v21, vcc_lo
	v_add_nc_u32_e32 v15, -1, v7
	s_delay_alu instid0(VALU_DEP_2) | instskip(NEXT) | instid1(VALU_DEP_1)
	v_and_b32_e32 v3, 0xfffff, v14
	v_add_co_u32 v13, vcc_lo, v3, v21
	v_add_co_ci_u32_e32 v14, vcc_lo, 0, v22, vcc_lo
                                        ; implicit-def: $vgpr3
	s_delay_alu instid0(VALU_DEP_4)
	v_cmpx_ne_u32_e32 0, v15
	s_xor_b32 s0, exec_lo, s0
; %bb.119:
	s_delay_alu instid0(VALU_DEP_3) | instskip(SKIP_1) | instid1(VALU_DEP_2)
	v_and_b32_e32 v16, 0x1000000, v13
	v_bfe_u32 v3, v13, 24, 1
	v_cmp_eq_u64_e32 vcc_lo, 0, v[16:17]
	s_delay_alu instid0(VALU_DEP_2)
	v_lshrrev_b64 v[13:14], v3, v[13:14]
	v_cndmask_b32_e32 v3, v7, v15, vcc_lo
; %bb.120:
	s_and_not1_saveexec_b32 s0, s0
; %bb.121:
	s_delay_alu instid0(VALU_DEP_2)
	v_bfe_u32 v3, v13, 23, 1
; %bb.122:
	s_or_b32 exec_lo, exec_lo, s0
	s_delay_alu instid0(VALU_DEP_3) | instskip(NEXT) | instid1(VALU_DEP_2)
	v_lshrrev_b64 v[13:14], 20, v[13:14]
	v_cmp_gt_i32_e32 vcc_lo, 16, v3
	v_cmp_ne_u32_e64 s0, 0, v3
	s_delay_alu instid0(VALU_DEP_3) | instskip(NEXT) | instid1(VALU_DEP_1)
	v_dual_cndmask_b32 v16, 0, v14 :: v_dual_cndmask_b32 v15, 7, v13
                                        ; implicit-def: $vgpr13_vgpr14
	v_cmp_ne_u64_e32 vcc_lo, 0, v[15:16]
	s_delay_alu instid0(VALU_DEP_3) | instskip(NEXT) | instid1(SALU_CYCLE_1)
	s_or_b32 s0, s0, vcc_lo
	s_and_saveexec_b32 s1, s0
	s_delay_alu instid0(SALU_CYCLE_1)
	s_xor_b32 s0, exec_lo, s1
; %bb.123:
	v_min_i32_e32 v3, 15, v3
	s_delay_alu instid0(VALU_DEP_1) | instskip(NEXT) | instid1(VALU_DEP_1)
	v_lshl_or_b32 v2, v3, 3, v2
	v_and_or_b32 v13, v15, 7, v2
                                        ; implicit-def: $vgpr2
; %bb.124:
	s_and_not1_saveexec_b32 s0, s0
; %bb.125:
	v_dual_mov_b32 v14, v3 :: v_dual_mov_b32 v13, v2
; %bb.126:
	s_or_b32 exec_lo, exec_lo, s0
.LBB6_127:
	s_delay_alu instid0(SALU_CYCLE_1)
	s_or_b32 exec_lo, exec_lo, s12
.LBB6_128:
	s_and_not1_saveexec_b32 s0, s5
	s_delay_alu instid0(SALU_CYCLE_1)
	s_or_b32 exec_lo, exec_lo, s0
                                        ; implicit-def: $vgpr7
                                        ; implicit-def: $vgpr15_vgpr16
.LBB6_129:
	s_and_not1_saveexec_b32 s0, s4
; %bb.130:
	v_cmp_eq_u64_e32 vcc_lo, 0, v[15:16]
	v_or_b32_e32 v2, 0x7f, v7
	s_delay_alu instid0(VALU_DEP_1)
	v_cndmask_b32_e32 v13, v2, v13, vcc_lo
; %bb.131:
	s_or_b32 exec_lo, exec_lo, s0
	v_lshlrev_b32_e32 v7, 16, v12
	v_lshlrev_b64 v[2:3], 3, v[8:9]
	v_lshlrev_b32_e32 v9, 16, v10
	v_lshlrev_b32_e32 v10, 24, v13
	;; [unrolled: 1-line block ×3, first 2 shown]
	v_and_b32_e32 v7, 0xff0000, v7
	v_lshlrev_b32_e32 v6, 8, v6
	v_perm_b32 v0, v0, v9, 0x4020c0c
	v_and_b32_e32 v9, 0xff, v11
	v_and_b32_e32 v11, 0xff00, v1
	v_or_b32_e32 v7, v10, v7
	v_and_b32_e32 v5, 0xff, v5
	v_and_or_b32 v6, 0xff00, v6, v0
	v_add_co_u32 v0, vcc_lo, v19, v2
	v_add_co_ci_u32_e32 v1, vcc_lo, v20, v3, vcc_lo
	v_or3_b32 v3, v7, v11, v9
	s_delay_alu instid0(VALU_DEP_4)
	v_or_b32_e32 v2, v6, v5
	global_store_b64 v[0:1], v[2:3], off
.LBB6_132:
	s_or_b32 exec_lo, exec_lo, s3
	v_cmp_eq_u32_e32 vcc_lo, 0, v8
	s_cmp_lg_u64 s[6:7], 0
	s_cselect_b32 s0, -1, 0
	s_delay_alu instid0(SALU_CYCLE_1) | instskip(NEXT) | instid1(SALU_CYCLE_1)
	s_and_b32 s1, s0, vcc_lo
	s_and_saveexec_b32 s0, s1
	s_cbranch_execz .LBB6_134
; %bb.133:
	v_mad_u64_u32 v[0:1], null, v18, s16, v[4:5]
	v_mov_b32_e32 v1, 0
	s_delay_alu instid0(VALU_DEP_1) | instskip(NEXT) | instid1(VALU_DEP_1)
	v_lshlrev_b64 v[0:1], 2, v[0:1]
	v_add_co_u32 v2, vcc_lo, s14, v0
	s_delay_alu instid0(VALU_DEP_2)
	v_add_co_ci_u32_e32 v3, vcc_lo, s15, v1, vcc_lo
	v_add_co_u32 v0, vcc_lo, s6, v0
	v_add_co_ci_u32_e32 v1, vcc_lo, s7, v1, vcc_lo
	global_load_b32 v2, v[2:3], off
	s_waitcnt vmcnt(0)
	global_store_b32 v[0:1], v2, off
.LBB6_134:
	s_or_b32 exec_lo, exec_lo, s0
                                        ; implicit-def: $vgpr8
                                        ; implicit-def: $vgpr4
                                        ; implicit-def: $vgpr18
                                        ; implicit-def: $vgpr5
                                        ; implicit-def: $vgpr0_vgpr1
                                        ; implicit-def: $vgpr21
                                        ; implicit-def: $vgpr2
                                        ; implicit-def: $vgpr3
                                        ; implicit-def: $vgpr19
                                        ; implicit-def: $vgpr20
.LBB6_135:
	s_and_not1_saveexec_b32 s0, s2
	s_cbranch_execz .LBB6_403
; %bb.136:
	v_mad_u64_u32 v[6:7], null, v18, s16, v[4:5]
	v_mov_b32_e32 v7, 0
	s_mov_b32 s1, exec_lo
	s_delay_alu instid0(VALU_DEP_1) | instskip(NEXT) | instid1(VALU_DEP_1)
	v_lshlrev_b64 v[10:11], 2, v[6:7]
	v_add_co_u32 v6, vcc_lo, s10, v10
	s_delay_alu instid0(VALU_DEP_2)
	v_add_co_ci_u32_e32 v7, vcc_lo, s11, v11, vcc_lo
	v_add_co_u32 v12, vcc_lo, s14, v10
	v_add_co_ci_u32_e32 v13, vcc_lo, s15, v11, vcc_lo
	global_load_b32 v4, v[6:7], off
	global_load_b32 v6, v[12:13], off
	s_waitcnt vmcnt(1)
	v_cmp_neq_f32_e64 vcc_lo, 0x7f800000, |v4|
	v_cndmask_b32_e32 v4, 0xff800000, v4, vcc_lo
	s_waitcnt vmcnt(0)
	v_cmp_neq_f32_e64 vcc_lo, 0x7f800000, |v6|
	s_delay_alu instid0(VALU_DEP_2) | instskip(SKIP_2) | instid1(VALU_DEP_3)
	v_dual_max_f32 v7, v4, v4 :: v_dual_cndmask_b32 v6, 0xff800000, v6
	v_add_co_u32 v0, vcc_lo, s8, v0
	v_add_co_ci_u32_e32 v1, vcc_lo, s9, v1, vcc_lo
	v_max_f32_e32 v9, v6, v6
	s_delay_alu instid0(VALU_DEP_1) | instskip(NEXT) | instid1(VALU_DEP_1)
	v_max_f32_e32 v22, v7, v9
	v_cmpx_neq_f32_e64 0x7f800000, |v22|
	s_xor_b32 s2, exec_lo, s1
	s_cbranch_execz .LBB6_270
; %bb.137:
	v_sub_f32_e32 v4, v4, v22
	v_sub_f32_e32 v6, v6, v22
	s_mov_b32 s3, exec_lo
	s_delay_alu instid0(VALU_DEP_2) | instskip(NEXT) | instid1(VALU_DEP_2)
	v_mul_f32_e32 v7, 0x3fb8aa3b, v4
	v_mul_f32_e32 v9, 0x3fb8aa3b, v6
	s_delay_alu instid0(VALU_DEP_2) | instskip(SKIP_1) | instid1(VALU_DEP_3)
	v_fma_f32 v12, 0x3fb8aa3b, v4, -v7
	v_rndne_f32_e32 v13, v7
	v_fma_f32 v14, 0x3fb8aa3b, v6, -v9
	v_rndne_f32_e32 v15, v9
	s_delay_alu instid0(VALU_DEP_3) | instskip(NEXT) | instid1(VALU_DEP_2)
	v_dual_sub_f32 v7, v7, v13 :: v_dual_fmac_f32 v12, 0x32a5705f, v4
	v_dual_sub_f32 v9, v9, v15 :: v_dual_fmac_f32 v14, 0x32a5705f, v6
	v_cmp_ngt_f32_e32 vcc_lo, 0xc2ce8ed0, v4
	s_delay_alu instid0(VALU_DEP_3) | instskip(SKIP_2) | instid1(VALU_DEP_3)
	v_add_f32_e32 v7, v7, v12
	v_cvt_i32_f32_e32 v12, v13
	v_cvt_i32_f32_e32 v13, v15
	v_exp_f32_e32 v7, v7
	s_waitcnt_depctr 0xfff
	v_ldexp_f32 v7, v7, v12
	s_delay_alu instid0(VALU_DEP_1) | instskip(SKIP_2) | instid1(VALU_DEP_2)
	v_cndmask_b32_e32 v7, 0, v7, vcc_lo
	v_add_f32_e32 v9, v9, v14
	v_cmp_ngt_f32_e32 vcc_lo, 0xc2ce8ed0, v6
	v_exp_f32_e32 v9, v9
	s_waitcnt_depctr 0xfff
	v_ldexp_f32 v9, v9, v13
	s_delay_alu instid0(VALU_DEP_1) | instskip(SKIP_3) | instid1(VALU_DEP_4)
	v_cndmask_b32_e32 v9, 0, v9, vcc_lo
	v_cmp_nlt_f32_e32 vcc_lo, 0x42b17218, v4
	v_cndmask_b32_e32 v12, 0x7f800000, v7, vcc_lo
	v_cmp_nlt_f32_e32 vcc_lo, 0x42b17218, v6
	v_cndmask_b32_e32 v13, 0x7f800000, v9, vcc_lo
	s_delay_alu instid0(VALU_DEP_1)
	v_add_f32_e32 v23, v12, v13
	v_cmpx_gt_u32_e64 s18, v5
	s_cbranch_execz .LBB6_267
; %bb.138:
	s_delay_alu instid0(VALU_DEP_2) | instskip(SKIP_1) | instid1(VALU_DEP_2)
	v_div_scale_f32 v14, null, v23, v23, v13
	v_div_scale_f32 v15, null, v23, v23, v12
	v_rcp_f32_e32 v16, v14
	s_delay_alu instid0(VALU_DEP_1) | instskip(SKIP_4) | instid1(VALU_DEP_3)
	v_rcp_f32_e32 v17, v15
	s_waitcnt_depctr 0xfff
	v_fma_f32 v18, -v14, v16, 1.0
	v_mov_b32_e32 v9, 0
	v_fma_f32 v24, -v15, v17, 1.0
	v_fmac_f32_e32 v16, v18, v16
	s_delay_alu instid0(VALU_DEP_3) | instskip(NEXT) | instid1(VALU_DEP_1)
	v_lshlrev_b64 v[4:5], 4, v[8:9]
	v_add_co_u32 v2, vcc_lo, v2, v4
	s_delay_alu instid0(VALU_DEP_2)
	v_add_co_ci_u32_e32 v3, vcc_lo, v3, v5, vcc_lo
	v_add_co_u32 v0, vcc_lo, v0, v4
	v_add_co_ci_u32_e32 v1, vcc_lo, v1, v5, vcc_lo
	global_load_b128 v[4:7], v[2:3], off
	global_load_b128 v[0:3], v[0:1], off
	v_div_scale_f32 v18, vcc_lo, v13, v23, v13
	v_fmac_f32_e32 v17, v24, v17
	v_div_scale_f32 v24, s0, v12, v23, v12
	s_delay_alu instid0(VALU_DEP_1) | instskip(NEXT) | instid1(VALU_DEP_1)
	v_dual_mul_f32 v25, v18, v16 :: v_dual_mul_f32 v26, v24, v17
	v_fma_f32 v27, -v14, v25, v18
	s_delay_alu instid0(VALU_DEP_2) | instskip(NEXT) | instid1(VALU_DEP_1)
	v_fma_f32 v28, -v15, v26, v24
	v_dual_fmac_f32 v25, v27, v16 :: v_dual_fmac_f32 v26, v28, v17
	s_delay_alu instid0(VALU_DEP_1) | instskip(NEXT) | instid1(VALU_DEP_2)
	v_fma_f32 v14, -v14, v25, v18
	v_fma_f32 v15, -v15, v26, v24
	s_delay_alu instid0(VALU_DEP_2) | instskip(SKIP_2) | instid1(VALU_DEP_2)
	v_div_fmas_f32 v14, v14, v16, v25
	s_mov_b32 vcc_lo, s0
	s_mov_b32 s0, 0x43e00000
	v_div_fmas_f32 v15, v15, v17, v26
	v_mov_b32_e32 v16, v9
	v_div_fixup_f32 v24, v14, v23, v13
	s_delay_alu instid0(VALU_DEP_3) | instskip(SKIP_3) | instid1(VALU_DEP_1)
	v_div_fixup_f32 v25, v15, v23, v12
	s_waitcnt vmcnt(1)
	v_lshlrev_b32_e32 v13, 16, v4
	s_waitcnt vmcnt(0)
	v_dual_mul_f32 v13, v24, v13 :: v_dual_lshlrev_b32 v12, 16, v0
	s_delay_alu instid0(VALU_DEP_1) | instskip(NEXT) | instid1(VALU_DEP_1)
	v_fmac_f32_e32 v13, v25, v12
	v_mul_f32_e32 v12, v21, v13
	s_delay_alu instid0(VALU_DEP_1) | instskip(SKIP_1) | instid1(VALU_DEP_1)
	v_minmax_f32 v17, v12, s0, 0xc3e00000
	s_mov_b32 s0, exec_lo
	v_and_b32_e32 v26, 0x7f800000, v17
	v_lshrrev_b32_e32 v13, 24, v17
	v_mov_b32_e32 v27, v9
	v_and_b32_e32 v15, 0x7fffff, v17
	s_delay_alu instid0(VALU_DEP_3) | instskip(NEXT) | instid1(VALU_DEP_1)
	v_and_b32_e32 v14, 0x80, v13
	v_or_b32_e32 v12, 0x7e, v14
	s_delay_alu instid0(VALU_DEP_4)
	v_cmpx_ne_u64_e32 0x7f800000, v[26:27]
	s_xor_b32 s4, exec_lo, s0
	s_cbranch_execz .LBB6_152
; %bb.139:
	v_dual_mov_b32 v27, v9 :: v_dual_and_b32 v26, 0x7fffffff, v17
	s_mov_b32 s0, exec_lo
	s_delay_alu instid0(VALU_DEP_1)
	v_cmpx_gt_u64_e32 0x43e00001, v[26:27]
	s_xor_b32 s5, exec_lo, s0
	s_cbranch_execz .LBB6_151
; %bb.140:
	s_mov_b32 s8, exec_lo
	v_mov_b32_e32 v12, 0
	v_mov_b32_e32 v13, 0
	v_cmpx_ne_u32_e32 0, v17
	s_cbranch_execz .LBB6_150
; %bb.141:
	v_bfe_u32 v18, v17, 23, 8
	s_delay_alu instid0(VALU_DEP_1) | instskip(SKIP_1) | instid1(VALU_DEP_2)
	v_sub_nc_u32_e64 v12, 0x79, v18 clamp
	v_cmp_eq_u32_e32 vcc_lo, 0, v18
	v_cndmask_b32_e64 v26, v12, 0x78, vcc_lo
	v_or_b32_e32 v12, 0x800000, v15
	s_delay_alu instid0(VALU_DEP_2) | instskip(NEXT) | instid1(VALU_DEP_2)
	v_add_nc_u32_e32 v13, 20, v26
	v_cndmask_b32_e32 v15, v12, v15, vcc_lo
	v_add_nc_u32_e32 v29, 19, v26
	s_delay_alu instid0(VALU_DEP_3) | instskip(NEXT) | instid1(VALU_DEP_1)
	v_lshlrev_b64 v[12:13], v13, -1
	v_not_b32_e32 v30, v13
	s_delay_alu instid0(VALU_DEP_2) | instskip(NEXT) | instid1(VALU_DEP_4)
	v_not_b32_e32 v31, v12
	v_lshlrev_b64 v[12:13], v29, 1
	s_delay_alu instid0(VALU_DEP_3) | instskip(SKIP_4) | instid1(VALU_DEP_4)
	v_and_b32_e32 v30, 0, v30
	v_lshrrev_b64 v[27:28], v26, v[15:16]
	v_mov_b32_e32 v17, 0
	v_and_b32_e32 v29, v15, v31
	v_add_nc_u32_e32 v15, 0xffffff88, v18
                                        ; implicit-def: $vgpr18
	v_and_b32_e32 v16, 0x100000, v27
	s_delay_alu instid0(VALU_DEP_3) | instskip(NEXT) | instid1(VALU_DEP_3)
	v_cmp_eq_u64_e64 s1, v[29:30], v[12:13]
	v_cndmask_b32_e64 v12, v15, 0xffffff89, vcc_lo
	v_lshrrev_b32_e32 v13, 23, v27
	s_delay_alu instid0(VALU_DEP_4) | instskip(NEXT) | instid1(VALU_DEP_2)
	v_cmp_eq_u64_e64 s0, 0, v[16:17]
	v_add3_u32 v15, v12, v26, v13
	s_delay_alu instid0(VALU_DEP_2) | instskip(SKIP_2) | instid1(VALU_DEP_2)
	s_and_b32 vcc_lo, s0, s1
	s_mov_b32 s0, exec_lo
	v_subrev_co_ci_u32_e32 v16, vcc_lo, 0, v27, vcc_lo
	v_add_nc_u32_e32 v26, -1, v15
	s_delay_alu instid0(VALU_DEP_2) | instskip(NEXT) | instid1(VALU_DEP_1)
	v_and_b32_e32 v12, 0xfffff, v16
	v_add_co_u32 v12, vcc_lo, v12, v27
	v_add_co_ci_u32_e32 v13, vcc_lo, 0, v28, vcc_lo
	s_delay_alu instid0(VALU_DEP_4)
	v_cmpx_ne_u32_e32 0, v26
	s_xor_b32 s0, exec_lo, s0
; %bb.142:
	s_delay_alu instid0(VALU_DEP_3) | instskip(SKIP_1) | instid1(VALU_DEP_2)
	v_and_b32_e32 v16, 0x1000000, v12
	v_bfe_u32 v18, v12, 24, 1
	v_cmp_eq_u64_e32 vcc_lo, 0, v[16:17]
	s_delay_alu instid0(VALU_DEP_2)
	v_lshrrev_b64 v[12:13], v18, v[12:13]
	v_cndmask_b32_e32 v18, v15, v26, vcc_lo
; %bb.143:
	s_and_not1_saveexec_b32 s0, s0
; %bb.144:
	s_delay_alu instid0(VALU_DEP_2)
	v_bfe_u32 v18, v12, 23, 1
; %bb.145:
	s_or_b32 exec_lo, exec_lo, s0
	s_delay_alu instid0(VALU_DEP_3) | instskip(NEXT) | instid1(VALU_DEP_2)
	v_lshrrev_b64 v[12:13], 20, v[12:13]
	v_cmp_gt_i32_e32 vcc_lo, 16, v18
	v_cmp_ne_u32_e64 s0, 0, v18
	s_delay_alu instid0(VALU_DEP_3) | instskip(NEXT) | instid1(VALU_DEP_1)
	v_dual_cndmask_b32 v16, 0, v13 :: v_dual_cndmask_b32 v15, 7, v12
                                        ; implicit-def: $vgpr12_vgpr13
	v_cmp_ne_u64_e32 vcc_lo, 0, v[15:16]
	s_delay_alu instid0(VALU_DEP_3) | instskip(NEXT) | instid1(SALU_CYCLE_1)
	s_or_b32 s0, s0, vcc_lo
	s_and_saveexec_b32 s1, s0
	s_delay_alu instid0(SALU_CYCLE_1)
	s_xor_b32 s0, exec_lo, s1
; %bb.146:
	v_min_i32_e32 v12, 15, v18
	s_delay_alu instid0(VALU_DEP_1) | instskip(NEXT) | instid1(VALU_DEP_1)
	v_lshl_or_b32 v12, v12, 3, v14
                                        ; implicit-def: $vgpr14
	v_and_or_b32 v12, v15, 7, v12
; %bb.147:
	s_and_not1_saveexec_b32 s0, s0
; %bb.148:
	v_dual_mov_b32 v12, v14 :: v_dual_mov_b32 v13, v15
; %bb.149:
	s_or_b32 exec_lo, exec_lo, s0
.LBB6_150:
	s_delay_alu instid0(SALU_CYCLE_1)
	s_or_b32 exec_lo, exec_lo, s8
.LBB6_151:
	s_and_not1_saveexec_b32 s0, s5
	s_delay_alu instid0(SALU_CYCLE_1)
	s_or_b32 exec_lo, exec_lo, s0
                                        ; implicit-def: $vgpr13
                                        ; implicit-def: $vgpr15_vgpr16
.LBB6_152:
	s_and_not1_saveexec_b32 s0, s4
; %bb.153:
	v_cmp_eq_u64_e32 vcc_lo, 0, v[15:16]
	v_or_b32_e32 v13, 0x7f, v13
	s_delay_alu instid0(VALU_DEP_1)
	v_cndmask_b32_e32 v12, v13, v12, vcc_lo
; %bb.154:
	s_or_b32 exec_lo, exec_lo, s0
	v_and_b32_e32 v4, 0xffff0000, v4
	v_and_b32_e32 v0, 0xffff0000, v0
	s_mov_b32 s0, 0x43e00000
	s_delay_alu instid0(VALU_DEP_2) | instskip(NEXT) | instid1(VALU_DEP_1)
	v_mul_f32_e32 v4, v24, v4
	v_fmac_f32_e32 v4, v25, v0
	s_delay_alu instid0(VALU_DEP_1) | instskip(NEXT) | instid1(VALU_DEP_1)
	v_mul_f32_e32 v0, v21, v4
	v_minmax_f32 v4, v0, s0, 0xc3e00000
	v_mov_b32_e32 v16, 0
	s_mov_b32 s0, exec_lo
	s_delay_alu instid0(VALU_DEP_2) | instskip(SKIP_1) | instid1(VALU_DEP_3)
	v_and_b32_e32 v17, 0x7f800000, v4
	v_lshrrev_b32_e32 v14, 24, v4
	v_dual_mov_b32 v18, v16 :: v_dual_and_b32 v15, 0x7fffff, v4
	s_delay_alu instid0(VALU_DEP_2) | instskip(NEXT) | instid1(VALU_DEP_1)
	v_and_b32_e32 v0, 0x80, v14
	v_or_b32_e32 v13, 0x7e, v0
	s_delay_alu instid0(VALU_DEP_3)
	v_cmpx_ne_u64_e32 0x7f800000, v[17:18]
	s_xor_b32 s4, exec_lo, s0
	s_cbranch_execz .LBB6_168
; %bb.155:
	v_dual_mov_b32 v18, v16 :: v_dual_and_b32 v17, 0x7fffffff, v4
	s_mov_b32 s0, exec_lo
	s_delay_alu instid0(VALU_DEP_1)
	v_cmpx_gt_u64_e32 0x43e00001, v[17:18]
	s_xor_b32 s5, exec_lo, s0
	s_cbranch_execz .LBB6_167
; %bb.156:
	s_mov_b32 s8, exec_lo
	v_mov_b32_e32 v13, 0
	v_mov_b32_e32 v14, 0
	v_cmpx_ne_u32_e32 0, v4
	s_cbranch_execz .LBB6_166
; %bb.157:
	v_bfe_u32 v4, v4, 23, 8
	v_mov_b32_e32 v17, 0
	s_delay_alu instid0(VALU_DEP_2) | instskip(SKIP_2) | instid1(VALU_DEP_3)
	v_sub_nc_u32_e64 v13, 0x79, v4 clamp
	v_cmp_eq_u32_e32 vcc_lo, 0, v4
	v_add_nc_u32_e32 v4, 0xffffff88, v4
	v_cndmask_b32_e64 v18, v13, 0x78, vcc_lo
	v_or_b32_e32 v13, 0x800000, v15
	s_delay_alu instid0(VALU_DEP_3) | instskip(NEXT) | instid1(VALU_DEP_2)
	v_cndmask_b32_e64 v4, v4, 0xffffff89, vcc_lo
	v_dual_cndmask_b32 v15, v13, v15 :: v_dual_add_nc_u32 v14, 20, v18
	v_add_nc_u32_e32 v28, 19, v18
	s_delay_alu instid0(VALU_DEP_2) | instskip(NEXT) | instid1(VALU_DEP_3)
	v_lshlrev_b64 v[13:14], v14, -1
	v_lshrrev_b64 v[26:27], v18, v[15:16]
	s_delay_alu instid0(VALU_DEP_2) | instskip(NEXT) | instid1(VALU_DEP_3)
	v_not_b32_e32 v29, v14
	v_not_b32_e32 v30, v13
	v_lshlrev_b64 v[13:14], v28, 1
	s_delay_alu instid0(VALU_DEP_4) | instskip(NEXT) | instid1(VALU_DEP_4)
	v_and_b32_e32 v16, 0x100000, v26
	v_and_b32_e32 v29, 0, v29
	s_delay_alu instid0(VALU_DEP_4) | instskip(NEXT) | instid1(VALU_DEP_3)
	v_and_b32_e32 v28, v15, v30
	v_cmp_eq_u64_e64 s0, 0, v[16:17]
	s_delay_alu instid0(VALU_DEP_2) | instskip(SKIP_1) | instid1(VALU_DEP_1)
	v_cmp_eq_u64_e64 s1, v[28:29], v[13:14]
	v_lshrrev_b32_e32 v13, 23, v26
	v_add3_u32 v15, v4, v18, v13
	s_delay_alu instid0(VALU_DEP_3) | instskip(SKIP_2) | instid1(VALU_DEP_2)
	s_and_b32 vcc_lo, s0, s1
	s_mov_b32 s0, exec_lo
	v_subrev_co_ci_u32_e32 v14, vcc_lo, 0, v26, vcc_lo
	v_add_nc_u32_e32 v18, -1, v15
	s_delay_alu instid0(VALU_DEP_2) | instskip(NEXT) | instid1(VALU_DEP_1)
	v_and_b32_e32 v4, 0xfffff, v14
	v_add_co_u32 v13, vcc_lo, v4, v26
	v_add_co_ci_u32_e32 v14, vcc_lo, 0, v27, vcc_lo
                                        ; implicit-def: $vgpr4
	s_delay_alu instid0(VALU_DEP_4)
	v_cmpx_ne_u32_e32 0, v18
	s_xor_b32 s0, exec_lo, s0
; %bb.158:
	s_delay_alu instid0(VALU_DEP_3) | instskip(SKIP_1) | instid1(VALU_DEP_2)
	v_and_b32_e32 v16, 0x1000000, v13
	v_bfe_u32 v4, v13, 24, 1
	v_cmp_eq_u64_e32 vcc_lo, 0, v[16:17]
	s_delay_alu instid0(VALU_DEP_2)
	v_lshrrev_b64 v[13:14], v4, v[13:14]
	v_cndmask_b32_e32 v4, v15, v18, vcc_lo
; %bb.159:
	s_and_not1_saveexec_b32 s0, s0
; %bb.160:
	s_delay_alu instid0(VALU_DEP_2)
	v_bfe_u32 v4, v13, 23, 1
; %bb.161:
	s_or_b32 exec_lo, exec_lo, s0
	s_delay_alu instid0(VALU_DEP_3) | instskip(NEXT) | instid1(VALU_DEP_2)
	v_lshrrev_b64 v[13:14], 20, v[13:14]
	v_cmp_gt_i32_e32 vcc_lo, 16, v4
	v_cmp_ne_u32_e64 s0, 0, v4
	s_delay_alu instid0(VALU_DEP_3) | instskip(NEXT) | instid1(VALU_DEP_1)
	v_dual_cndmask_b32 v16, 0, v14 :: v_dual_cndmask_b32 v15, 7, v13
                                        ; implicit-def: $vgpr13_vgpr14
	v_cmp_ne_u64_e32 vcc_lo, 0, v[15:16]
	s_delay_alu instid0(VALU_DEP_3) | instskip(NEXT) | instid1(SALU_CYCLE_1)
	s_or_b32 s0, s0, vcc_lo
	s_and_saveexec_b32 s1, s0
	s_delay_alu instid0(SALU_CYCLE_1)
	s_xor_b32 s0, exec_lo, s1
; %bb.162:
	v_min_i32_e32 v4, 15, v4
	s_delay_alu instid0(VALU_DEP_1) | instskip(NEXT) | instid1(VALU_DEP_1)
	v_lshl_or_b32 v0, v4, 3, v0
	v_and_or_b32 v13, v15, 7, v0
                                        ; implicit-def: $vgpr0
; %bb.163:
	s_and_not1_saveexec_b32 s0, s0
; %bb.164:
	v_dual_mov_b32 v14, v1 :: v_dual_mov_b32 v13, v0
; %bb.165:
	s_or_b32 exec_lo, exec_lo, s0
.LBB6_166:
	s_delay_alu instid0(SALU_CYCLE_1)
	s_or_b32 exec_lo, exec_lo, s8
.LBB6_167:
	s_and_not1_saveexec_b32 s0, s5
	s_delay_alu instid0(SALU_CYCLE_1)
	s_or_b32 exec_lo, exec_lo, s0
                                        ; implicit-def: $vgpr14
                                        ; implicit-def: $vgpr15_vgpr16
.LBB6_168:
	s_and_not1_saveexec_b32 s0, s4
; %bb.169:
	v_cmp_eq_u64_e32 vcc_lo, 0, v[15:16]
	v_or_b32_e32 v0, 0x7f, v14
	s_delay_alu instid0(VALU_DEP_1)
	v_cndmask_b32_e32 v13, v0, v13, vcc_lo
; %bb.170:
	s_or_b32 exec_lo, exec_lo, s0
	v_dual_mov_b32 v17, 0 :: v_dual_lshlrev_b32 v0, 16, v5
	v_lshlrev_b32_e32 v4, 16, v1
	s_mov_b32 s0, 0x43e00000
	s_delay_alu instid0(VALU_DEP_2) | instskip(NEXT) | instid1(VALU_DEP_1)
	v_dual_mul_f32 v0, v24, v0 :: v_dual_mov_b32 v27, v17
	v_fmac_f32_e32 v0, v25, v4
	s_delay_alu instid0(VALU_DEP_1) | instskip(NEXT) | instid1(VALU_DEP_1)
	v_mul_f32_e32 v0, v21, v0
	v_minmax_f32 v4, v0, s0, 0xc3e00000
	s_mov_b32 s0, exec_lo
	s_delay_alu instid0(VALU_DEP_1) | instskip(SKIP_2) | instid1(VALU_DEP_3)
	v_lshrrev_b32_e32 v15, 24, v4
	v_and_b32_e32 v26, 0x7f800000, v4
	v_and_b32_e32 v16, 0x7fffff, v4
	;; [unrolled: 1-line block ×3, first 2 shown]
	s_delay_alu instid0(VALU_DEP_1) | instskip(NEXT) | instid1(VALU_DEP_4)
	v_or_b32_e32 v14, 0x7e, v0
	v_cmpx_ne_u64_e32 0x7f800000, v[26:27]
	s_xor_b32 s4, exec_lo, s0
	s_cbranch_execz .LBB6_184
; %bb.171:
	v_dual_mov_b32 v27, v17 :: v_dual_and_b32 v26, 0x7fffffff, v4
	s_mov_b32 s0, exec_lo
	s_delay_alu instid0(VALU_DEP_1)
	v_cmpx_gt_u64_e32 0x43e00001, v[26:27]
	s_xor_b32 s5, exec_lo, s0
	s_cbranch_execz .LBB6_183
; %bb.172:
	s_mov_b32 s8, exec_lo
	v_mov_b32_e32 v14, 0
	v_mov_b32_e32 v15, 0
	v_cmpx_ne_u32_e32 0, v4
	s_cbranch_execz .LBB6_182
; %bb.173:
	v_bfe_u32 v4, v4, 23, 8
	v_mov_b32_e32 v18, 0
	s_delay_alu instid0(VALU_DEP_2) | instskip(SKIP_2) | instid1(VALU_DEP_3)
	v_sub_nc_u32_e64 v14, 0x79, v4 clamp
	v_cmp_eq_u32_e32 vcc_lo, 0, v4
	v_add_nc_u32_e32 v4, 0xffffff88, v4
	v_cndmask_b32_e64 v26, v14, 0x78, vcc_lo
	v_or_b32_e32 v14, 0x800000, v16
	s_delay_alu instid0(VALU_DEP_3) | instskip(NEXT) | instid1(VALU_DEP_2)
	v_cndmask_b32_e64 v4, v4, 0xffffff89, vcc_lo
	v_dual_cndmask_b32 v16, v14, v16 :: v_dual_add_nc_u32 v15, 20, v26
	v_add_nc_u32_e32 v29, 19, v26
	s_delay_alu instid0(VALU_DEP_2) | instskip(NEXT) | instid1(VALU_DEP_3)
	v_lshlrev_b64 v[14:15], v15, -1
	v_lshrrev_b64 v[27:28], v26, v[16:17]
	s_delay_alu instid0(VALU_DEP_2) | instskip(NEXT) | instid1(VALU_DEP_3)
	v_not_b32_e32 v30, v15
	v_not_b32_e32 v31, v14
	v_lshlrev_b64 v[14:15], v29, 1
	s_delay_alu instid0(VALU_DEP_4) | instskip(NEXT) | instid1(VALU_DEP_4)
	v_and_b32_e32 v17, 0x100000, v27
	v_and_b32_e32 v30, 0, v30
	s_delay_alu instid0(VALU_DEP_4) | instskip(NEXT) | instid1(VALU_DEP_3)
	v_and_b32_e32 v29, v16, v31
	v_cmp_eq_u64_e64 s0, 0, v[17:18]
	s_delay_alu instid0(VALU_DEP_2) | instskip(SKIP_1) | instid1(VALU_DEP_1)
	v_cmp_eq_u64_e64 s1, v[29:30], v[14:15]
	v_lshrrev_b32_e32 v14, 23, v27
	v_add3_u32 v16, v4, v26, v14
	s_delay_alu instid0(VALU_DEP_3) | instskip(SKIP_2) | instid1(VALU_DEP_2)
	s_and_b32 vcc_lo, s0, s1
	s_mov_b32 s0, exec_lo
	v_subrev_co_ci_u32_e32 v15, vcc_lo, 0, v27, vcc_lo
	v_add_nc_u32_e32 v26, -1, v16
	s_delay_alu instid0(VALU_DEP_2) | instskip(NEXT) | instid1(VALU_DEP_1)
	v_and_b32_e32 v4, 0xfffff, v15
	v_add_co_u32 v14, vcc_lo, v4, v27
	v_add_co_ci_u32_e32 v15, vcc_lo, 0, v28, vcc_lo
                                        ; implicit-def: $vgpr4
	s_delay_alu instid0(VALU_DEP_4)
	v_cmpx_ne_u32_e32 0, v26
	s_xor_b32 s0, exec_lo, s0
; %bb.174:
	s_delay_alu instid0(VALU_DEP_3) | instskip(SKIP_1) | instid1(VALU_DEP_2)
	v_and_b32_e32 v17, 0x1000000, v14
	v_bfe_u32 v4, v14, 24, 1
	v_cmp_eq_u64_e32 vcc_lo, 0, v[17:18]
	s_delay_alu instid0(VALU_DEP_2)
	v_lshrrev_b64 v[14:15], v4, v[14:15]
	v_cndmask_b32_e32 v4, v16, v26, vcc_lo
; %bb.175:
	s_and_not1_saveexec_b32 s0, s0
; %bb.176:
	s_delay_alu instid0(VALU_DEP_2)
	v_bfe_u32 v4, v14, 23, 1
; %bb.177:
	s_or_b32 exec_lo, exec_lo, s0
	s_delay_alu instid0(VALU_DEP_3) | instskip(NEXT) | instid1(VALU_DEP_2)
	v_lshrrev_b64 v[14:15], 20, v[14:15]
	v_cmp_gt_i32_e32 vcc_lo, 16, v4
	v_cmp_ne_u32_e64 s0, 0, v4
	s_delay_alu instid0(VALU_DEP_3) | instskip(NEXT) | instid1(VALU_DEP_1)
	v_dual_cndmask_b32 v17, 0, v15 :: v_dual_cndmask_b32 v16, 7, v14
                                        ; implicit-def: $vgpr14_vgpr15
	v_cmp_ne_u64_e32 vcc_lo, 0, v[16:17]
	s_delay_alu instid0(VALU_DEP_3) | instskip(NEXT) | instid1(SALU_CYCLE_1)
	s_or_b32 s0, s0, vcc_lo
	s_and_saveexec_b32 s1, s0
	s_delay_alu instid0(SALU_CYCLE_1)
	s_xor_b32 s0, exec_lo, s1
; %bb.178:
	v_min_i32_e32 v4, 15, v4
	s_delay_alu instid0(VALU_DEP_1) | instskip(NEXT) | instid1(VALU_DEP_1)
	v_lshl_or_b32 v0, v4, 3, v0
	v_and_or_b32 v14, v16, 7, v0
                                        ; implicit-def: $vgpr0
; %bb.179:
	s_and_not1_saveexec_b32 s0, s0
; %bb.180:
	v_dual_mov_b32 v15, v1 :: v_dual_mov_b32 v14, v0
; %bb.181:
	s_or_b32 exec_lo, exec_lo, s0
.LBB6_182:
	s_delay_alu instid0(SALU_CYCLE_1)
	s_or_b32 exec_lo, exec_lo, s8
.LBB6_183:
	s_and_not1_saveexec_b32 s0, s5
	s_delay_alu instid0(SALU_CYCLE_1)
	s_or_b32 exec_lo, exec_lo, s0
                                        ; implicit-def: $vgpr15
                                        ; implicit-def: $vgpr16_vgpr17
.LBB6_184:
	s_and_not1_saveexec_b32 s0, s4
; %bb.185:
	v_cmp_eq_u64_e32 vcc_lo, 0, v[16:17]
	v_or_b32_e32 v0, 0x7f, v15
	s_delay_alu instid0(VALU_DEP_1)
	v_cndmask_b32_e32 v14, v0, v14, vcc_lo
; %bb.186:
	s_or_b32 exec_lo, exec_lo, s0
	v_and_b32_e32 v0, 0xffff0000, v5
	v_and_b32_e32 v1, 0xffff0000, v1
	s_mov_b32 s0, 0x43e00000
	s_delay_alu instid0(VALU_DEP_2) | instskip(NEXT) | instid1(VALU_DEP_1)
	v_mul_f32_e32 v0, v24, v0
	v_fmac_f32_e32 v0, v25, v1
	s_delay_alu instid0(VALU_DEP_1) | instskip(NEXT) | instid1(VALU_DEP_1)
	v_mul_f32_e32 v0, v21, v0
	v_minmax_f32 v5, v0, s0, 0xc3e00000
	v_mov_b32_e32 v16, 0
	s_mov_b32 s0, exec_lo
	s_delay_alu instid0(VALU_DEP_2) | instskip(SKIP_1) | instid1(VALU_DEP_3)
	v_and_b32_e32 v15, 0x7fffff, v5
	v_lshrrev_b32_e32 v1, 24, v5
	v_dual_mov_b32 v18, v16 :: v_dual_and_b32 v17, 0x7f800000, v5
	s_delay_alu instid0(VALU_DEP_2) | instskip(NEXT) | instid1(VALU_DEP_1)
	v_and_b32_e32 v4, 0x80, v1
	v_or_b32_e32 v0, 0x7e, v4
	s_delay_alu instid0(VALU_DEP_3)
	v_cmpx_ne_u64_e32 0x7f800000, v[17:18]
	s_xor_b32 s4, exec_lo, s0
	s_cbranch_execz .LBB6_200
; %bb.187:
	v_dual_mov_b32 v18, v16 :: v_dual_and_b32 v17, 0x7fffffff, v5
	s_mov_b32 s0, exec_lo
	s_delay_alu instid0(VALU_DEP_1)
	v_cmpx_gt_u64_e32 0x43e00001, v[17:18]
	s_xor_b32 s5, exec_lo, s0
	s_cbranch_execz .LBB6_199
; %bb.188:
	s_mov_b32 s8, exec_lo
	v_mov_b32_e32 v0, 0
	v_mov_b32_e32 v1, 0
	v_cmpx_ne_u32_e32 0, v5
	s_cbranch_execz .LBB6_198
; %bb.189:
	v_bfe_u32 v5, v5, 23, 8
	s_delay_alu instid0(VALU_DEP_1) | instskip(SKIP_2) | instid1(VALU_DEP_3)
	v_sub_nc_u32_e64 v0, 0x79, v5 clamp
	v_cmp_eq_u32_e32 vcc_lo, 0, v5
	v_add_nc_u32_e32 v5, 0xffffff88, v5
	v_cndmask_b32_e64 v18, v0, 0x78, vcc_lo
	v_or_b32_e32 v0, 0x800000, v15
	s_delay_alu instid0(VALU_DEP_2) | instskip(NEXT) | instid1(VALU_DEP_2)
	v_add_nc_u32_e32 v1, 20, v18
	v_dual_cndmask_b32 v15, v0, v15 :: v_dual_add_nc_u32 v28, 19, v18
	s_delay_alu instid0(VALU_DEP_2) | instskip(NEXT) | instid1(VALU_DEP_2)
	v_lshlrev_b64 v[0:1], v1, -1
	v_lshrrev_b64 v[26:27], v18, v[15:16]
	v_mov_b32_e32 v17, 0
	s_delay_alu instid0(VALU_DEP_3) | instskip(NEXT) | instid1(VALU_DEP_3)
	v_not_b32_e32 v29, v1
	v_and_b32_e32 v16, 0x100000, v26
	v_not_b32_e32 v30, v0
	v_lshlrev_b64 v[0:1], v28, 1
	s_delay_alu instid0(VALU_DEP_4) | instskip(NEXT) | instid1(VALU_DEP_4)
	v_and_b32_e32 v29, 0, v29
	v_cmp_eq_u64_e64 s0, 0, v[16:17]
	s_delay_alu instid0(VALU_DEP_4) | instskip(NEXT) | instid1(VALU_DEP_1)
	v_and_b32_e32 v28, v15, v30
	v_cmp_eq_u64_e64 s1, v[28:29], v[0:1]
	v_cndmask_b32_e64 v0, v5, 0xffffff89, vcc_lo
	v_lshrrev_b32_e32 v1, 23, v26
	s_delay_alu instid0(VALU_DEP_3) | instskip(NEXT) | instid1(VALU_DEP_1)
	s_and_b32 vcc_lo, s0, s1
	v_add3_u32 v15, v0, v18, v1
	v_subrev_co_ci_u32_e32 v5, vcc_lo, 0, v26, vcc_lo
	s_mov_b32 s0, exec_lo
	s_delay_alu instid0(VALU_DEP_2) | instskip(NEXT) | instid1(VALU_DEP_2)
	v_add_nc_u32_e32 v18, -1, v15
	v_and_b32_e32 v0, 0xfffff, v5
                                        ; implicit-def: $vgpr5
	s_delay_alu instid0(VALU_DEP_1) | instskip(SKIP_1) | instid1(VALU_DEP_4)
	v_add_co_u32 v0, vcc_lo, v0, v26
	v_add_co_ci_u32_e32 v1, vcc_lo, 0, v27, vcc_lo
	v_cmpx_ne_u32_e32 0, v18
	s_xor_b32 s0, exec_lo, s0
; %bb.190:
	s_delay_alu instid0(VALU_DEP_3) | instskip(SKIP_1) | instid1(VALU_DEP_2)
	v_and_b32_e32 v16, 0x1000000, v0
	v_bfe_u32 v5, v0, 24, 1
	v_cmp_eq_u64_e32 vcc_lo, 0, v[16:17]
	s_delay_alu instid0(VALU_DEP_2)
	v_lshrrev_b64 v[0:1], v5, v[0:1]
	v_cndmask_b32_e32 v5, v15, v18, vcc_lo
; %bb.191:
	s_and_not1_saveexec_b32 s0, s0
; %bb.192:
	s_delay_alu instid0(VALU_DEP_2)
	v_bfe_u32 v5, v0, 23, 1
; %bb.193:
	s_or_b32 exec_lo, exec_lo, s0
	s_delay_alu instid0(VALU_DEP_3) | instskip(NEXT) | instid1(VALU_DEP_2)
	v_lshrrev_b64 v[0:1], 20, v[0:1]
	v_cmp_gt_i32_e32 vcc_lo, 16, v5
	v_cmp_ne_u32_e64 s0, 0, v5
	s_delay_alu instid0(VALU_DEP_3) | instskip(NEXT) | instid1(VALU_DEP_1)
	v_dual_cndmask_b32 v16, 0, v1 :: v_dual_cndmask_b32 v15, 7, v0
                                        ; implicit-def: $vgpr0_vgpr1
	v_cmp_ne_u64_e32 vcc_lo, 0, v[15:16]
	s_delay_alu instid0(VALU_DEP_3) | instskip(NEXT) | instid1(SALU_CYCLE_1)
	s_or_b32 s0, s0, vcc_lo
	s_and_saveexec_b32 s1, s0
	s_delay_alu instid0(SALU_CYCLE_1)
	s_xor_b32 s0, exec_lo, s1
; %bb.194:
	v_min_i32_e32 v0, 15, v5
	s_delay_alu instid0(VALU_DEP_1) | instskip(NEXT) | instid1(VALU_DEP_1)
	v_lshl_or_b32 v0, v0, 3, v4
                                        ; implicit-def: $vgpr4
	v_and_or_b32 v0, v15, 7, v0
; %bb.195:
	s_and_not1_saveexec_b32 s0, s0
; %bb.196:
	v_dual_mov_b32 v0, v4 :: v_dual_mov_b32 v1, v5
; %bb.197:
	s_or_b32 exec_lo, exec_lo, s0
.LBB6_198:
	s_delay_alu instid0(SALU_CYCLE_1)
	s_or_b32 exec_lo, exec_lo, s8
.LBB6_199:
	s_and_not1_saveexec_b32 s0, s5
	s_delay_alu instid0(SALU_CYCLE_1)
	s_or_b32 exec_lo, exec_lo, s0
                                        ; implicit-def: $vgpr1
                                        ; implicit-def: $vgpr15_vgpr16
.LBB6_200:
	s_and_not1_saveexec_b32 s0, s4
; %bb.201:
	v_cmp_eq_u64_e32 vcc_lo, 0, v[15:16]
	v_or_b32_e32 v1, 0x7f, v1
	s_delay_alu instid0(VALU_DEP_1)
	v_cndmask_b32_e32 v0, v1, v0, vcc_lo
; %bb.202:
	s_or_b32 exec_lo, exec_lo, s0
	v_dual_mov_b32 v16, 0 :: v_dual_lshlrev_b32 v1, 16, v6
	v_lshlrev_b32_e32 v4, 16, v2
	s_mov_b32 s0, 0x43e00000
	s_delay_alu instid0(VALU_DEP_2) | instskip(NEXT) | instid1(VALU_DEP_3)
	v_mul_f32_e32 v1, v24, v1
	v_mov_b32_e32 v27, v16
	s_delay_alu instid0(VALU_DEP_2) | instskip(NEXT) | instid1(VALU_DEP_1)
	v_fmac_f32_e32 v1, v25, v4
	v_mul_f32_e32 v1, v21, v1
	s_delay_alu instid0(VALU_DEP_1) | instskip(SKIP_1) | instid1(VALU_DEP_1)
	v_minmax_f32 v17, v1, s0, 0xc3e00000
	s_mov_b32 s0, exec_lo
	v_and_b32_e32 v26, 0x7f800000, v17
	v_lshrrev_b32_e32 v5, 24, v17
	v_and_b32_e32 v15, 0x7fffff, v17
	s_delay_alu instid0(VALU_DEP_2) | instskip(NEXT) | instid1(VALU_DEP_1)
	v_and_b32_e32 v1, 0x80, v5
	v_or_b32_e32 v4, 0x7e, v1
	v_cmpx_ne_u64_e32 0x7f800000, v[26:27]
	s_xor_b32 s4, exec_lo, s0
	s_cbranch_execz .LBB6_216
; %bb.203:
	v_dual_mov_b32 v27, v16 :: v_dual_and_b32 v26, 0x7fffffff, v17
	s_mov_b32 s0, exec_lo
	s_delay_alu instid0(VALU_DEP_1)
	v_cmpx_gt_u64_e32 0x43e00001, v[26:27]
	s_xor_b32 s5, exec_lo, s0
	s_cbranch_execz .LBB6_215
; %bb.204:
	s_mov_b32 s8, exec_lo
	v_mov_b32_e32 v4, 0
	v_mov_b32_e32 v5, 0
	v_cmpx_ne_u32_e32 0, v17
	s_cbranch_execz .LBB6_214
; %bb.205:
	v_bfe_u32 v18, v17, 23, 8
	s_delay_alu instid0(VALU_DEP_1) | instskip(SKIP_1) | instid1(VALU_DEP_2)
	v_sub_nc_u32_e64 v4, 0x79, v18 clamp
	v_cmp_eq_u32_e32 vcc_lo, 0, v18
	v_cndmask_b32_e64 v26, v4, 0x78, vcc_lo
	v_or_b32_e32 v4, 0x800000, v15
	s_delay_alu instid0(VALU_DEP_2) | instskip(NEXT) | instid1(VALU_DEP_2)
	v_add_nc_u32_e32 v5, 20, v26
	v_cndmask_b32_e32 v15, v4, v15, vcc_lo
	v_add_nc_u32_e32 v29, 19, v26
	s_delay_alu instid0(VALU_DEP_3) | instskip(NEXT) | instid1(VALU_DEP_1)
	v_lshlrev_b64 v[4:5], v5, -1
	v_not_b32_e32 v30, v5
	s_delay_alu instid0(VALU_DEP_2) | instskip(NEXT) | instid1(VALU_DEP_4)
	v_not_b32_e32 v31, v4
	v_lshlrev_b64 v[4:5], v29, 1
	s_delay_alu instid0(VALU_DEP_3) | instskip(SKIP_4) | instid1(VALU_DEP_4)
	v_and_b32_e32 v30, 0, v30
	v_lshrrev_b64 v[27:28], v26, v[15:16]
	v_mov_b32_e32 v17, 0
	v_and_b32_e32 v29, v15, v31
	v_add_nc_u32_e32 v15, 0xffffff88, v18
                                        ; implicit-def: $vgpr18
	v_and_b32_e32 v16, 0x100000, v27
	s_delay_alu instid0(VALU_DEP_3) | instskip(NEXT) | instid1(VALU_DEP_3)
	v_cmp_eq_u64_e64 s1, v[29:30], v[4:5]
	v_cndmask_b32_e64 v4, v15, 0xffffff89, vcc_lo
	v_lshrrev_b32_e32 v5, 23, v27
	s_delay_alu instid0(VALU_DEP_4) | instskip(NEXT) | instid1(VALU_DEP_2)
	v_cmp_eq_u64_e64 s0, 0, v[16:17]
	v_add3_u32 v15, v4, v26, v5
	s_delay_alu instid0(VALU_DEP_2) | instskip(SKIP_2) | instid1(VALU_DEP_2)
	s_and_b32 vcc_lo, s0, s1
	s_mov_b32 s0, exec_lo
	v_subrev_co_ci_u32_e32 v16, vcc_lo, 0, v27, vcc_lo
	v_add_nc_u32_e32 v26, -1, v15
	s_delay_alu instid0(VALU_DEP_2) | instskip(NEXT) | instid1(VALU_DEP_1)
	v_and_b32_e32 v4, 0xfffff, v16
	v_add_co_u32 v4, vcc_lo, v4, v27
	v_add_co_ci_u32_e32 v5, vcc_lo, 0, v28, vcc_lo
	s_delay_alu instid0(VALU_DEP_4)
	v_cmpx_ne_u32_e32 0, v26
	s_xor_b32 s0, exec_lo, s0
; %bb.206:
	s_delay_alu instid0(VALU_DEP_3) | instskip(SKIP_1) | instid1(VALU_DEP_2)
	v_and_b32_e32 v16, 0x1000000, v4
	v_bfe_u32 v18, v4, 24, 1
	v_cmp_eq_u64_e32 vcc_lo, 0, v[16:17]
	s_delay_alu instid0(VALU_DEP_2)
	v_lshrrev_b64 v[4:5], v18, v[4:5]
	v_cndmask_b32_e32 v18, v15, v26, vcc_lo
; %bb.207:
	s_and_not1_saveexec_b32 s0, s0
; %bb.208:
	s_delay_alu instid0(VALU_DEP_2)
	v_bfe_u32 v18, v4, 23, 1
; %bb.209:
	s_or_b32 exec_lo, exec_lo, s0
	s_delay_alu instid0(VALU_DEP_3) | instskip(NEXT) | instid1(VALU_DEP_2)
	v_lshrrev_b64 v[4:5], 20, v[4:5]
	v_cmp_gt_i32_e32 vcc_lo, 16, v18
	v_cmp_ne_u32_e64 s0, 0, v18
	s_delay_alu instid0(VALU_DEP_3) | instskip(NEXT) | instid1(VALU_DEP_1)
	v_dual_cndmask_b32 v16, 0, v5 :: v_dual_cndmask_b32 v15, 7, v4
                                        ; implicit-def: $vgpr4_vgpr5
	v_cmp_ne_u64_e32 vcc_lo, 0, v[15:16]
	s_delay_alu instid0(VALU_DEP_3) | instskip(NEXT) | instid1(SALU_CYCLE_1)
	s_or_b32 s0, s0, vcc_lo
	s_and_saveexec_b32 s1, s0
	s_delay_alu instid0(SALU_CYCLE_1)
	s_xor_b32 s0, exec_lo, s1
; %bb.210:
	v_min_i32_e32 v4, 15, v18
	s_delay_alu instid0(VALU_DEP_1) | instskip(NEXT) | instid1(VALU_DEP_1)
	v_lshl_or_b32 v1, v4, 3, v1
	v_and_or_b32 v4, v15, 7, v1
                                        ; implicit-def: $vgpr1
; %bb.211:
	s_and_not1_saveexec_b32 s0, s0
; %bb.212:
	v_dual_mov_b32 v5, v2 :: v_dual_mov_b32 v4, v1
; %bb.213:
	s_or_b32 exec_lo, exec_lo, s0
.LBB6_214:
	s_delay_alu instid0(SALU_CYCLE_1)
	s_or_b32 exec_lo, exec_lo, s8
.LBB6_215:
	s_and_not1_saveexec_b32 s0, s5
	s_delay_alu instid0(SALU_CYCLE_1)
	s_or_b32 exec_lo, exec_lo, s0
                                        ; implicit-def: $vgpr5
                                        ; implicit-def: $vgpr15_vgpr16
.LBB6_216:
	s_and_not1_saveexec_b32 s0, s4
; %bb.217:
	v_cmp_eq_u64_e32 vcc_lo, 0, v[15:16]
	v_or_b32_e32 v1, 0x7f, v5
	s_delay_alu instid0(VALU_DEP_1)
	v_cndmask_b32_e32 v4, v1, v4, vcc_lo
; %bb.218:
	s_or_b32 exec_lo, exec_lo, s0
	v_dual_mov_b32 v16, 0 :: v_dual_and_b32 v1, 0xffff0000, v6
	v_and_b32_e32 v2, 0xffff0000, v2
	s_mov_b32 s0, 0x43e00000
	s_delay_alu instid0(VALU_DEP_2) | instskip(NEXT) | instid1(VALU_DEP_1)
	v_mul_f32_e32 v1, v24, v1
	v_dual_mov_b32 v18, v16 :: v_dual_fmac_f32 v1, v25, v2
	s_delay_alu instid0(VALU_DEP_1) | instskip(NEXT) | instid1(VALU_DEP_1)
	v_mul_f32_e32 v1, v21, v1
	v_minmax_f32 v6, v1, s0, 0xc3e00000
	s_mov_b32 s0, exec_lo
	s_delay_alu instid0(VALU_DEP_1) | instskip(SKIP_2) | instid1(VALU_DEP_3)
	v_lshrrev_b32_e32 v2, 24, v6
	v_and_b32_e32 v17, 0x7f800000, v6
	v_and_b32_e32 v15, 0x7fffff, v6
	v_and_b32_e32 v5, 0x80, v2
	s_delay_alu instid0(VALU_DEP_1) | instskip(NEXT) | instid1(VALU_DEP_4)
	v_or_b32_e32 v1, 0x7e, v5
	v_cmpx_ne_u64_e32 0x7f800000, v[17:18]
	s_xor_b32 s4, exec_lo, s0
	s_cbranch_execz .LBB6_232
; %bb.219:
	v_dual_mov_b32 v18, v16 :: v_dual_and_b32 v17, 0x7fffffff, v6
	s_mov_b32 s0, exec_lo
	s_delay_alu instid0(VALU_DEP_1)
	v_cmpx_gt_u64_e32 0x43e00001, v[17:18]
	s_xor_b32 s5, exec_lo, s0
	s_cbranch_execz .LBB6_231
; %bb.220:
	s_mov_b32 s8, exec_lo
	v_mov_b32_e32 v1, 0
	v_mov_b32_e32 v2, 0
	v_cmpx_ne_u32_e32 0, v6
	s_cbranch_execz .LBB6_230
; %bb.221:
	v_bfe_u32 v6, v6, 23, 8
	v_mov_b32_e32 v17, 0
	s_delay_alu instid0(VALU_DEP_2) | instskip(SKIP_2) | instid1(VALU_DEP_3)
	v_sub_nc_u32_e64 v1, 0x79, v6 clamp
	v_cmp_eq_u32_e32 vcc_lo, 0, v6
	v_add_nc_u32_e32 v6, 0xffffff88, v6
	v_cndmask_b32_e64 v18, v1, 0x78, vcc_lo
	v_or_b32_e32 v1, 0x800000, v15
	s_delay_alu instid0(VALU_DEP_1) | instskip(SKIP_1) | instid1(VALU_DEP_2)
	v_dual_cndmask_b32 v15, v1, v15 :: v_dual_add_nc_u32 v2, 20, v18
	v_add_nc_u32_e32 v28, 19, v18
	v_lshlrev_b64 v[1:2], v2, -1
	s_delay_alu instid0(VALU_DEP_3) | instskip(NEXT) | instid1(VALU_DEP_2)
	v_lshrrev_b64 v[26:27], v18, v[15:16]
	v_not_b32_e32 v29, v2
	s_delay_alu instid0(VALU_DEP_3) | instskip(SKIP_1) | instid1(VALU_DEP_4)
	v_not_b32_e32 v30, v1
	v_lshlrev_b64 v[1:2], v28, 1
	v_and_b32_e32 v16, 0x100000, v26
	s_delay_alu instid0(VALU_DEP_4) | instskip(NEXT) | instid1(VALU_DEP_4)
	v_and_b32_e32 v29, 0, v29
	v_and_b32_e32 v28, v15, v30
	s_delay_alu instid0(VALU_DEP_3) | instskip(NEXT) | instid1(VALU_DEP_2)
	v_cmp_eq_u64_e64 s0, 0, v[16:17]
	v_cmp_eq_u64_e64 s1, v[28:29], v[1:2]
	v_cndmask_b32_e64 v1, v6, 0xffffff89, vcc_lo
	v_lshrrev_b32_e32 v2, 23, v26
	s_delay_alu instid0(VALU_DEP_3) | instskip(NEXT) | instid1(VALU_DEP_1)
	s_and_b32 vcc_lo, s0, s1
	v_add3_u32 v15, v1, v18, v2
	v_subrev_co_ci_u32_e32 v6, vcc_lo, 0, v26, vcc_lo
	s_mov_b32 s0, exec_lo
	s_delay_alu instid0(VALU_DEP_2) | instskip(NEXT) | instid1(VALU_DEP_2)
	v_add_nc_u32_e32 v18, -1, v15
	v_and_b32_e32 v1, 0xfffff, v6
                                        ; implicit-def: $vgpr6
	s_delay_alu instid0(VALU_DEP_1) | instskip(SKIP_1) | instid1(VALU_DEP_4)
	v_add_co_u32 v1, vcc_lo, v1, v26
	v_add_co_ci_u32_e32 v2, vcc_lo, 0, v27, vcc_lo
	v_cmpx_ne_u32_e32 0, v18
	s_xor_b32 s0, exec_lo, s0
; %bb.222:
	s_delay_alu instid0(VALU_DEP_3) | instskip(SKIP_1) | instid1(VALU_DEP_2)
	v_and_b32_e32 v16, 0x1000000, v1
	v_bfe_u32 v6, v1, 24, 1
	v_cmp_eq_u64_e32 vcc_lo, 0, v[16:17]
	s_delay_alu instid0(VALU_DEP_2)
	v_lshrrev_b64 v[1:2], v6, v[1:2]
	v_cndmask_b32_e32 v6, v15, v18, vcc_lo
; %bb.223:
	s_and_not1_saveexec_b32 s0, s0
; %bb.224:
	s_delay_alu instid0(VALU_DEP_2)
	v_bfe_u32 v6, v1, 23, 1
; %bb.225:
	s_or_b32 exec_lo, exec_lo, s0
	s_delay_alu instid0(VALU_DEP_3) | instskip(NEXT) | instid1(VALU_DEP_2)
	v_lshrrev_b64 v[1:2], 20, v[1:2]
	v_cmp_gt_i32_e32 vcc_lo, 16, v6
	v_cmp_ne_u32_e64 s0, 0, v6
	s_delay_alu instid0(VALU_DEP_3) | instskip(NEXT) | instid1(VALU_DEP_1)
	v_dual_cndmask_b32 v16, 0, v2 :: v_dual_cndmask_b32 v15, 7, v1
                                        ; implicit-def: $vgpr1_vgpr2
	v_cmp_ne_u64_e32 vcc_lo, 0, v[15:16]
	s_delay_alu instid0(VALU_DEP_3) | instskip(NEXT) | instid1(SALU_CYCLE_1)
	s_or_b32 s0, s0, vcc_lo
	s_and_saveexec_b32 s1, s0
	s_delay_alu instid0(SALU_CYCLE_1)
	s_xor_b32 s0, exec_lo, s1
; %bb.226:
	v_min_i32_e32 v1, 15, v6
	s_delay_alu instid0(VALU_DEP_1) | instskip(NEXT) | instid1(VALU_DEP_1)
	v_lshl_or_b32 v1, v1, 3, v5
                                        ; implicit-def: $vgpr5
	v_and_or_b32 v1, v15, 7, v1
; %bb.227:
	s_and_not1_saveexec_b32 s0, s0
; %bb.228:
	v_dual_mov_b32 v1, v5 :: v_dual_mov_b32 v2, v6
; %bb.229:
	s_or_b32 exec_lo, exec_lo, s0
.LBB6_230:
	s_delay_alu instid0(SALU_CYCLE_1)
	s_or_b32 exec_lo, exec_lo, s8
.LBB6_231:
	s_and_not1_saveexec_b32 s0, s5
	s_delay_alu instid0(SALU_CYCLE_1)
	s_or_b32 exec_lo, exec_lo, s0
                                        ; implicit-def: $vgpr2
                                        ; implicit-def: $vgpr15_vgpr16
.LBB6_232:
	s_and_not1_saveexec_b32 s0, s4
; %bb.233:
	v_cmp_eq_u64_e32 vcc_lo, 0, v[15:16]
	v_or_b32_e32 v2, 0x7f, v2
	s_delay_alu instid0(VALU_DEP_1)
	v_cndmask_b32_e32 v1, v2, v1, vcc_lo
; %bb.234:
	s_or_b32 exec_lo, exec_lo, s0
	v_mov_b32_e32 v16, 0
	v_lshlrev_b32_e32 v2, 16, v7
	s_mov_b32 s0, 0x43e00000
	s_delay_alu instid0(VALU_DEP_2) | instskip(NEXT) | instid1(VALU_DEP_2)
	v_mov_b32_e32 v27, v16
	v_dual_mul_f32 v2, v24, v2 :: v_dual_lshlrev_b32 v5, 16, v3
	s_delay_alu instid0(VALU_DEP_1) | instskip(NEXT) | instid1(VALU_DEP_1)
	v_fmac_f32_e32 v2, v25, v5
	v_mul_f32_e32 v2, v21, v2
	s_delay_alu instid0(VALU_DEP_1) | instskip(SKIP_1) | instid1(VALU_DEP_1)
	v_minmax_f32 v17, v2, s0, 0xc3e00000
	s_mov_b32 s0, exec_lo
	v_and_b32_e32 v15, 0x7fffff, v17
	v_lshrrev_b32_e32 v6, 24, v17
	v_and_b32_e32 v26, 0x7f800000, v17
	s_delay_alu instid0(VALU_DEP_2) | instskip(NEXT) | instid1(VALU_DEP_1)
	v_and_b32_e32 v2, 0x80, v6
	v_or_b32_e32 v5, 0x7e, v2
	s_delay_alu instid0(VALU_DEP_3)
	v_cmpx_ne_u64_e32 0x7f800000, v[26:27]
	s_xor_b32 s4, exec_lo, s0
	s_cbranch_execz .LBB6_248
; %bb.235:
	v_dual_mov_b32 v27, v16 :: v_dual_and_b32 v26, 0x7fffffff, v17
	s_mov_b32 s0, exec_lo
	s_delay_alu instid0(VALU_DEP_1)
	v_cmpx_gt_u64_e32 0x43e00001, v[26:27]
	s_xor_b32 s5, exec_lo, s0
	s_cbranch_execz .LBB6_247
; %bb.236:
	s_mov_b32 s8, exec_lo
	v_mov_b32_e32 v5, 0
	v_mov_b32_e32 v6, 0
	v_cmpx_ne_u32_e32 0, v17
	s_cbranch_execz .LBB6_246
; %bb.237:
	v_bfe_u32 v18, v17, 23, 8
	s_delay_alu instid0(VALU_DEP_1) | instskip(SKIP_1) | instid1(VALU_DEP_2)
	v_sub_nc_u32_e64 v5, 0x79, v18 clamp
	v_cmp_eq_u32_e32 vcc_lo, 0, v18
	v_cndmask_b32_e64 v26, v5, 0x78, vcc_lo
	v_or_b32_e32 v5, 0x800000, v15
	s_delay_alu instid0(VALU_DEP_1) | instskip(SKIP_1) | instid1(VALU_DEP_2)
	v_dual_cndmask_b32 v15, v5, v15 :: v_dual_add_nc_u32 v6, 20, v26
	v_add_nc_u32_e32 v29, 19, v26
	v_lshlrev_b64 v[5:6], v6, -1
	s_delay_alu instid0(VALU_DEP_3) | instskip(SKIP_1) | instid1(VALU_DEP_3)
	v_lshrrev_b64 v[27:28], v26, v[15:16]
	v_mov_b32_e32 v17, 0
	v_not_b32_e32 v30, v6
	s_delay_alu instid0(VALU_DEP_3) | instskip(SKIP_2) | instid1(VALU_DEP_4)
	v_and_b32_e32 v16, 0x100000, v27
	v_not_b32_e32 v31, v5
	v_lshlrev_b64 v[5:6], v29, 1
	v_and_b32_e32 v30, 0, v30
	s_delay_alu instid0(VALU_DEP_4) | instskip(NEXT) | instid1(VALU_DEP_4)
	v_cmp_eq_u64_e64 s0, 0, v[16:17]
	v_and_b32_e32 v29, v15, v31
	v_add_nc_u32_e32 v15, 0xffffff88, v18
                                        ; implicit-def: $vgpr18
	s_delay_alu instid0(VALU_DEP_2) | instskip(NEXT) | instid1(VALU_DEP_2)
	v_cmp_eq_u64_e64 s1, v[29:30], v[5:6]
	v_cndmask_b32_e64 v5, v15, 0xffffff89, vcc_lo
	v_lshrrev_b32_e32 v6, 23, v27
	s_delay_alu instid0(VALU_DEP_3) | instskip(NEXT) | instid1(VALU_DEP_1)
	s_and_b32 vcc_lo, s0, s1
	v_add3_u32 v15, v5, v26, v6
	v_subrev_co_ci_u32_e32 v16, vcc_lo, 0, v27, vcc_lo
	s_mov_b32 s0, exec_lo
	s_delay_alu instid0(VALU_DEP_2) | instskip(NEXT) | instid1(VALU_DEP_2)
	v_add_nc_u32_e32 v26, -1, v15
	v_and_b32_e32 v5, 0xfffff, v16
	s_delay_alu instid0(VALU_DEP_1) | instskip(SKIP_1) | instid1(VALU_DEP_4)
	v_add_co_u32 v5, vcc_lo, v5, v27
	v_add_co_ci_u32_e32 v6, vcc_lo, 0, v28, vcc_lo
	v_cmpx_ne_u32_e32 0, v26
	s_xor_b32 s0, exec_lo, s0
; %bb.238:
	s_delay_alu instid0(VALU_DEP_3) | instskip(SKIP_1) | instid1(VALU_DEP_2)
	v_and_b32_e32 v16, 0x1000000, v5
	v_bfe_u32 v18, v5, 24, 1
	v_cmp_eq_u64_e32 vcc_lo, 0, v[16:17]
	s_delay_alu instid0(VALU_DEP_2)
	v_lshrrev_b64 v[5:6], v18, v[5:6]
	v_cndmask_b32_e32 v18, v15, v26, vcc_lo
; %bb.239:
	s_and_not1_saveexec_b32 s0, s0
; %bb.240:
	s_delay_alu instid0(VALU_DEP_2)
	v_bfe_u32 v18, v5, 23, 1
; %bb.241:
	s_or_b32 exec_lo, exec_lo, s0
	s_delay_alu instid0(VALU_DEP_3) | instskip(NEXT) | instid1(VALU_DEP_2)
	v_lshrrev_b64 v[5:6], 20, v[5:6]
	v_cmp_gt_i32_e32 vcc_lo, 16, v18
	v_cmp_ne_u32_e64 s0, 0, v18
	s_delay_alu instid0(VALU_DEP_3) | instskip(NEXT) | instid1(VALU_DEP_1)
	v_dual_cndmask_b32 v16, 0, v6 :: v_dual_cndmask_b32 v15, 7, v5
                                        ; implicit-def: $vgpr5_vgpr6
	v_cmp_ne_u64_e32 vcc_lo, 0, v[15:16]
	s_delay_alu instid0(VALU_DEP_3) | instskip(NEXT) | instid1(SALU_CYCLE_1)
	s_or_b32 s0, s0, vcc_lo
	s_and_saveexec_b32 s1, s0
	s_delay_alu instid0(SALU_CYCLE_1)
	s_xor_b32 s0, exec_lo, s1
; %bb.242:
	v_min_i32_e32 v5, 15, v18
	s_delay_alu instid0(VALU_DEP_1) | instskip(NEXT) | instid1(VALU_DEP_1)
	v_lshl_or_b32 v2, v5, 3, v2
	v_and_or_b32 v5, v15, 7, v2
                                        ; implicit-def: $vgpr2
; %bb.243:
	s_and_not1_saveexec_b32 s0, s0
; %bb.244:
	v_dual_mov_b32 v6, v3 :: v_dual_mov_b32 v5, v2
; %bb.245:
	s_or_b32 exec_lo, exec_lo, s0
.LBB6_246:
	s_delay_alu instid0(SALU_CYCLE_1)
	s_or_b32 exec_lo, exec_lo, s8
.LBB6_247:
	s_and_not1_saveexec_b32 s0, s5
	s_delay_alu instid0(SALU_CYCLE_1)
	s_or_b32 exec_lo, exec_lo, s0
                                        ; implicit-def: $vgpr6
                                        ; implicit-def: $vgpr15_vgpr16
.LBB6_248:
	s_and_not1_saveexec_b32 s0, s4
; %bb.249:
	v_cmp_eq_u64_e32 vcc_lo, 0, v[15:16]
	v_or_b32_e32 v2, 0x7f, v6
	s_delay_alu instid0(VALU_DEP_1)
	v_cndmask_b32_e32 v5, v2, v5, vcc_lo
; %bb.250:
	s_or_b32 exec_lo, exec_lo, s0
	v_and_b32_e32 v2, 0xffff0000, v7
	v_and_b32_e32 v3, 0xffff0000, v3
	s_mov_b32 s0, 0x43e00000
	s_delay_alu instid0(VALU_DEP_2) | instskip(NEXT) | instid1(VALU_DEP_1)
	v_mul_f32_e32 v2, v24, v2
	v_fmac_f32_e32 v2, v25, v3
	s_delay_alu instid0(VALU_DEP_1) | instskip(NEXT) | instid1(VALU_DEP_1)
	v_mul_f32_e32 v2, v21, v2
	v_minmax_f32 v3, v2, s0, 0xc3e00000
	v_mov_b32_e32 v16, 0
	s_mov_b32 s0, exec_lo
	s_delay_alu instid0(VALU_DEP_2) | instskip(SKIP_1) | instid1(VALU_DEP_3)
	v_and_b32_e32 v15, 0x7fffff, v3
	v_lshrrev_b32_e32 v7, 24, v3
	v_dual_mov_b32 v18, v16 :: v_dual_and_b32 v17, 0x7f800000, v3
	s_delay_alu instid0(VALU_DEP_2) | instskip(NEXT) | instid1(VALU_DEP_1)
	v_and_b32_e32 v2, 0x80, v7
	v_or_b32_e32 v6, 0x7e, v2
	s_delay_alu instid0(VALU_DEP_3)
	v_cmpx_ne_u64_e32 0x7f800000, v[17:18]
	s_xor_b32 s4, exec_lo, s0
	s_cbranch_execz .LBB6_264
; %bb.251:
	v_dual_mov_b32 v18, v16 :: v_dual_and_b32 v17, 0x7fffffff, v3
	s_mov_b32 s0, exec_lo
	s_delay_alu instid0(VALU_DEP_1)
	v_cmpx_gt_u64_e32 0x43e00001, v[17:18]
	s_xor_b32 s5, exec_lo, s0
	s_cbranch_execz .LBB6_263
; %bb.252:
	s_mov_b32 s8, exec_lo
	v_mov_b32_e32 v6, 0
	v_mov_b32_e32 v7, 0
	v_cmpx_ne_u32_e32 0, v3
	s_cbranch_execz .LBB6_262
; %bb.253:
	v_bfe_u32 v3, v3, 23, 8
	s_delay_alu instid0(VALU_DEP_1) | instskip(SKIP_2) | instid1(VALU_DEP_3)
	v_sub_nc_u32_e64 v6, 0x79, v3 clamp
	v_cmp_eq_u32_e32 vcc_lo, 0, v3
	v_add_nc_u32_e32 v3, 0xffffff88, v3
	v_cndmask_b32_e64 v18, v6, 0x78, vcc_lo
	v_or_b32_e32 v6, 0x800000, v15
	s_delay_alu instid0(VALU_DEP_3) | instskip(NEXT) | instid1(VALU_DEP_3)
	v_cndmask_b32_e64 v3, v3, 0xffffff89, vcc_lo
	v_add_nc_u32_e32 v7, 20, v18
	s_delay_alu instid0(VALU_DEP_3) | instskip(SKIP_1) | instid1(VALU_DEP_3)
	v_cndmask_b32_e32 v15, v6, v15, vcc_lo
	v_add_nc_u32_e32 v21, 19, v18
	v_lshlrev_b64 v[6:7], v7, -1
	s_delay_alu instid0(VALU_DEP_3) | instskip(NEXT) | instid1(VALU_DEP_2)
	v_lshrrev_b64 v[24:25], v18, v[15:16]
	v_not_b32_e32 v26, v7
	s_delay_alu instid0(VALU_DEP_2) | instskip(NEXT) | instid1(VALU_DEP_4)
	v_and_b32_e32 v16, 0x100000, v24
	v_not_b32_e32 v28, v6
	v_lshlrev_b64 v[6:7], v21, 1
	v_mov_b32_e32 v17, 0
	v_and_b32_e32 v27, 0, v26
	s_delay_alu instid0(VALU_DEP_4) | instskip(NEXT) | instid1(VALU_DEP_3)
	v_and_b32_e32 v26, v15, v28
	v_cmp_eq_u64_e64 s0, 0, v[16:17]
	s_delay_alu instid0(VALU_DEP_2) | instskip(SKIP_1) | instid1(VALU_DEP_1)
	v_cmp_eq_u64_e64 s1, v[26:27], v[6:7]
	v_lshrrev_b32_e32 v6, 23, v24
	v_add3_u32 v15, v3, v18, v6
	s_delay_alu instid0(VALU_DEP_3) | instskip(SKIP_2) | instid1(VALU_DEP_2)
	s_and_b32 vcc_lo, s0, s1
	s_mov_b32 s0, exec_lo
	v_subrev_co_ci_u32_e32 v7, vcc_lo, 0, v24, vcc_lo
	v_add_nc_u32_e32 v18, -1, v15
	s_delay_alu instid0(VALU_DEP_2) | instskip(NEXT) | instid1(VALU_DEP_1)
	v_and_b32_e32 v3, 0xfffff, v7
	v_add_co_u32 v6, vcc_lo, v3, v24
	v_add_co_ci_u32_e32 v7, vcc_lo, 0, v25, vcc_lo
                                        ; implicit-def: $vgpr3
	s_delay_alu instid0(VALU_DEP_4)
	v_cmpx_ne_u32_e32 0, v18
	s_xor_b32 s0, exec_lo, s0
; %bb.254:
	s_delay_alu instid0(VALU_DEP_3) | instskip(SKIP_1) | instid1(VALU_DEP_2)
	v_and_b32_e32 v16, 0x1000000, v6
	v_bfe_u32 v3, v6, 24, 1
	v_cmp_eq_u64_e32 vcc_lo, 0, v[16:17]
	s_delay_alu instid0(VALU_DEP_2)
	v_lshrrev_b64 v[6:7], v3, v[6:7]
	v_cndmask_b32_e32 v3, v15, v18, vcc_lo
; %bb.255:
	s_and_not1_saveexec_b32 s0, s0
; %bb.256:
	s_delay_alu instid0(VALU_DEP_2)
	v_bfe_u32 v3, v6, 23, 1
; %bb.257:
	s_or_b32 exec_lo, exec_lo, s0
	s_delay_alu instid0(VALU_DEP_3) | instskip(NEXT) | instid1(VALU_DEP_2)
	v_lshrrev_b64 v[6:7], 20, v[6:7]
	v_cmp_gt_i32_e32 vcc_lo, 16, v3
	v_cmp_ne_u32_e64 s0, 0, v3
	s_delay_alu instid0(VALU_DEP_3) | instskip(NEXT) | instid1(VALU_DEP_1)
	v_dual_cndmask_b32 v16, 0, v7 :: v_dual_cndmask_b32 v15, 7, v6
                                        ; implicit-def: $vgpr6_vgpr7
	v_cmp_ne_u64_e32 vcc_lo, 0, v[15:16]
	s_delay_alu instid0(VALU_DEP_3) | instskip(NEXT) | instid1(SALU_CYCLE_1)
	s_or_b32 s0, s0, vcc_lo
	s_and_saveexec_b32 s1, s0
	s_delay_alu instid0(SALU_CYCLE_1)
	s_xor_b32 s0, exec_lo, s1
; %bb.258:
	v_min_i32_e32 v3, 15, v3
	s_delay_alu instid0(VALU_DEP_1) | instskip(NEXT) | instid1(VALU_DEP_1)
	v_lshl_or_b32 v2, v3, 3, v2
	v_and_or_b32 v6, v15, 7, v2
                                        ; implicit-def: $vgpr2
; %bb.259:
	s_and_not1_saveexec_b32 s0, s0
; %bb.260:
	v_dual_mov_b32 v7, v3 :: v_dual_mov_b32 v6, v2
; %bb.261:
	s_or_b32 exec_lo, exec_lo, s0
.LBB6_262:
	s_delay_alu instid0(SALU_CYCLE_1)
	s_or_b32 exec_lo, exec_lo, s8
.LBB6_263:
	s_and_not1_saveexec_b32 s0, s5
	s_delay_alu instid0(SALU_CYCLE_1)
	s_or_b32 exec_lo, exec_lo, s0
                                        ; implicit-def: $vgpr7
                                        ; implicit-def: $vgpr15_vgpr16
.LBB6_264:
	s_and_not1_saveexec_b32 s0, s4
; %bb.265:
	v_cmp_eq_u64_e32 vcc_lo, 0, v[15:16]
	v_or_b32_e32 v2, 0x7f, v7
	s_delay_alu instid0(VALU_DEP_1)
	v_cndmask_b32_e32 v6, v2, v6, vcc_lo
; %bb.266:
	s_or_b32 exec_lo, exec_lo, s0
	v_lshlrev_b32_e32 v5, 16, v5
	v_lshlrev_b32_e32 v7, 16, v14
	v_lshlrev_b64 v[2:3], 3, v[8:9]
	v_lshlrev_b32_e32 v6, 24, v6
	v_lshlrev_b32_e32 v1, 8, v1
	v_and_b32_e32 v5, 0xff0000, v5
	v_lshlrev_b32_e32 v9, 8, v13
	v_perm_b32 v0, v0, v7, 0x4020c0c
	v_and_b32_e32 v4, 0xff, v4
	v_and_b32_e32 v7, 0xff00, v1
	v_or_b32_e32 v5, v6, v5
	v_and_b32_e32 v6, 0xff, v12
	v_and_or_b32 v9, 0xff00, v9, v0
	v_add_co_u32 v0, vcc_lo, v19, v2
	v_add_co_ci_u32_e32 v1, vcc_lo, v20, v3, vcc_lo
	v_or3_b32 v3, v5, v7, v4
	s_delay_alu instid0(VALU_DEP_4)
	v_or_b32_e32 v2, v9, v6
	global_store_b64 v[0:1], v[2:3], off
.LBB6_267:
	s_or_b32 exec_lo, exec_lo, s3
	v_cmp_eq_u32_e32 vcc_lo, 0, v8
	s_cmp_lg_u64 s[6:7], 0
	s_cselect_b32 s0, -1, 0
	s_delay_alu instid0(SALU_CYCLE_1) | instskip(NEXT) | instid1(SALU_CYCLE_1)
	s_and_b32 s0, s0, vcc_lo
	s_and_saveexec_b32 s1, s0
	s_cbranch_execz .LBB6_269
; %bb.268:
	v_cmp_gt_f32_e32 vcc_lo, 0x800000, v23
	v_cndmask_b32_e64 v0, 1.0, 0x4f800000, vcc_lo
	s_delay_alu instid0(VALU_DEP_1) | instskip(NEXT) | instid1(VALU_DEP_1)
	v_mul_f32_e32 v0, v23, v0
	v_log_f32_e32 v0, v0
	s_waitcnt_depctr 0xfff
	v_mul_f32_e32 v1, 0x3f317217, v0
	v_cmp_gt_f32_e64 s0, 0x7f800000, |v0|
	s_delay_alu instid0(VALU_DEP_2) | instskip(NEXT) | instid1(VALU_DEP_1)
	v_fma_f32 v2, 0x3f317217, v0, -v1
	v_fmamk_f32 v2, v0, 0x3377d1cf, v2
	s_delay_alu instid0(VALU_DEP_1) | instskip(NEXT) | instid1(VALU_DEP_1)
	v_add_f32_e32 v1, v1, v2
	v_cndmask_b32_e64 v0, v0, v1, s0
	v_cndmask_b32_e64 v1, 0, 0x41b17218, vcc_lo
	s_delay_alu instid0(VALU_DEP_1) | instskip(SKIP_2) | instid1(VALU_DEP_3)
	v_sub_f32_e32 v2, v0, v1
	v_add_co_u32 v0, vcc_lo, s6, v10
	v_add_co_ci_u32_e32 v1, vcc_lo, s7, v11, vcc_lo
	v_add_f32_e32 v2, v22, v2
	global_store_b32 v[0:1], v2, off
.LBB6_269:
	s_or_b32 exec_lo, exec_lo, s1
                                        ; implicit-def: $vgpr22
                                        ; implicit-def: $vgpr10_vgpr11
                                        ; implicit-def: $vgpr0
                                        ; implicit-def: $vgpr1
                                        ; implicit-def: $vgpr8
                                        ; implicit-def: $vgpr5
                                        ; implicit-def: $vgpr21
                                        ; implicit-def: $vgpr19
                                        ; implicit-def: $vgpr20
.LBB6_270:
	s_and_not1_saveexec_b32 s0, s2
	s_cbranch_execz .LBB6_403
; %bb.271:
	s_mov_b32 s2, exec_lo
	v_cmpx_gt_u32_e64 s18, v5
	s_cbranch_execz .LBB6_401
; %bb.272:
	v_mov_b32_e32 v9, 0
	s_mov_b32 s0, 0x43e00000
	s_delay_alu instid0(VALU_DEP_1) | instskip(NEXT) | instid1(VALU_DEP_1)
	v_lshlrev_b64 v[2:3], 4, v[8:9]
	v_add_co_u32 v0, vcc_lo, v0, v2
	s_delay_alu instid0(VALU_DEP_2) | instskip(SKIP_4) | instid1(VALU_DEP_2)
	v_add_co_ci_u32_e32 v1, vcc_lo, v1, v3, vcc_lo
	global_load_b128 v[0:3], v[0:1], off
	s_waitcnt vmcnt(0)
	v_dual_mov_b32 v15, v9 :: v_dual_lshlrev_b32 v4, 16, v0
	v_mov_b32_e32 v13, v9
	v_mul_f32_e32 v4, v21, v4
	s_delay_alu instid0(VALU_DEP_1) | instskip(SKIP_1) | instid1(VALU_DEP_1)
	v_minmax_f32 v7, v4, s0, 0xc3e00000
	s_mov_b32 s0, exec_lo
	v_lshrrev_b32_e32 v5, 24, v7
	v_and_b32_e32 v14, 0x7f800000, v7
	v_and_b32_e32 v12, 0x7fffff, v7
	s_delay_alu instid0(VALU_DEP_3) | instskip(NEXT) | instid1(VALU_DEP_1)
	v_and_b32_e32 v6, 0x80, v5
	v_or_b32_e32 v4, 0x7e, v6
	s_delay_alu instid0(VALU_DEP_4)
	v_cmpx_ne_u64_e32 0x7f800000, v[14:15]
	s_xor_b32 s3, exec_lo, s0
	s_cbranch_execz .LBB6_286
; %bb.273:
	v_dual_mov_b32 v15, v9 :: v_dual_and_b32 v14, 0x7fffffff, v7
	s_mov_b32 s0, exec_lo
	s_delay_alu instid0(VALU_DEP_1)
	v_cmpx_gt_u64_e32 0x43e00001, v[14:15]
	s_xor_b32 s4, exec_lo, s0
	s_cbranch_execz .LBB6_285
; %bb.274:
	s_mov_b32 s5, exec_lo
	v_mov_b32_e32 v4, 0
	v_mov_b32_e32 v5, 0
	v_cmpx_ne_u32_e32 0, v7
	s_cbranch_execz .LBB6_284
; %bb.275:
	v_bfe_u32 v7, v7, 23, 8
	s_delay_alu instid0(VALU_DEP_1) | instskip(SKIP_2) | instid1(VALU_DEP_3)
	v_sub_nc_u32_e64 v4, 0x79, v7 clamp
	v_cmp_eq_u32_e32 vcc_lo, 0, v7
	v_add_nc_u32_e32 v7, 0xffffff88, v7
	v_cndmask_b32_e64 v15, v4, 0x78, vcc_lo
	v_or_b32_e32 v4, 0x800000, v12
	s_delay_alu instid0(VALU_DEP_1) | instskip(SKIP_1) | instid1(VALU_DEP_2)
	v_dual_cndmask_b32 v12, v4, v12 :: v_dual_add_nc_u32 v5, 20, v15
	v_add_nc_u32_e32 v18, 19, v15
	v_lshlrev_b64 v[4:5], v5, -1
	s_delay_alu instid0(VALU_DEP_3) | instskip(SKIP_1) | instid1(VALU_DEP_3)
	v_lshrrev_b64 v[16:17], v15, v[12:13]
	v_mov_b32_e32 v14, 0
	v_not_b32_e32 v23, v5
	s_delay_alu instid0(VALU_DEP_3) | instskip(SKIP_2) | instid1(VALU_DEP_4)
	v_and_b32_e32 v13, 0x100000, v16
	v_not_b32_e32 v25, v4
	v_lshlrev_b64 v[4:5], v18, 1
	v_and_b32_e32 v24, 0, v23
	s_delay_alu instid0(VALU_DEP_4) | instskip(NEXT) | instid1(VALU_DEP_4)
	v_cmp_eq_u64_e64 s0, 0, v[13:14]
	v_and_b32_e32 v23, v12, v25
	s_delay_alu instid0(VALU_DEP_1) | instskip(SKIP_2) | instid1(VALU_DEP_3)
	v_cmp_eq_u64_e64 s1, v[23:24], v[4:5]
	v_cndmask_b32_e64 v4, v7, 0xffffff89, vcc_lo
	v_lshrrev_b32_e32 v5, 23, v16
	s_and_b32 vcc_lo, s0, s1
	s_delay_alu instid0(VALU_DEP_1) | instskip(SKIP_2) | instid1(VALU_DEP_2)
	v_add3_u32 v12, v4, v15, v5
	v_subrev_co_ci_u32_e32 v7, vcc_lo, 0, v16, vcc_lo
	s_mov_b32 s0, exec_lo
	v_add_nc_u32_e32 v15, -1, v12
	s_delay_alu instid0(VALU_DEP_2) | instskip(NEXT) | instid1(VALU_DEP_1)
	v_and_b32_e32 v4, 0xfffff, v7
                                        ; implicit-def: $vgpr7
	v_add_co_u32 v4, vcc_lo, v4, v16
	v_add_co_ci_u32_e32 v5, vcc_lo, 0, v17, vcc_lo
	s_delay_alu instid0(VALU_DEP_4)
	v_cmpx_ne_u32_e32 0, v15
	s_xor_b32 s0, exec_lo, s0
; %bb.276:
	s_delay_alu instid0(VALU_DEP_3) | instskip(SKIP_1) | instid1(VALU_DEP_2)
	v_and_b32_e32 v13, 0x1000000, v4
	v_bfe_u32 v7, v4, 24, 1
	v_cmp_eq_u64_e32 vcc_lo, 0, v[13:14]
	s_delay_alu instid0(VALU_DEP_2)
	v_lshrrev_b64 v[4:5], v7, v[4:5]
	v_cndmask_b32_e32 v7, v12, v15, vcc_lo
; %bb.277:
	s_and_not1_saveexec_b32 s0, s0
; %bb.278:
	s_delay_alu instid0(VALU_DEP_2)
	v_bfe_u32 v7, v4, 23, 1
; %bb.279:
	s_or_b32 exec_lo, exec_lo, s0
	s_delay_alu instid0(VALU_DEP_3) | instskip(NEXT) | instid1(VALU_DEP_2)
	v_lshrrev_b64 v[4:5], 20, v[4:5]
	v_cmp_gt_i32_e32 vcc_lo, 16, v7
	v_cmp_ne_u32_e64 s0, 0, v7
	s_delay_alu instid0(VALU_DEP_3) | instskip(NEXT) | instid1(VALU_DEP_1)
	v_dual_cndmask_b32 v13, 0, v5 :: v_dual_cndmask_b32 v12, 7, v4
                                        ; implicit-def: $vgpr4_vgpr5
	v_cmp_ne_u64_e32 vcc_lo, 0, v[12:13]
	s_delay_alu instid0(VALU_DEP_3) | instskip(NEXT) | instid1(SALU_CYCLE_1)
	s_or_b32 s0, s0, vcc_lo
	s_and_saveexec_b32 s1, s0
	s_delay_alu instid0(SALU_CYCLE_1)
	s_xor_b32 s0, exec_lo, s1
; %bb.280:
	v_min_i32_e32 v4, 15, v7
	s_delay_alu instid0(VALU_DEP_1) | instskip(NEXT) | instid1(VALU_DEP_1)
	v_lshl_or_b32 v4, v4, 3, v6
                                        ; implicit-def: $vgpr6
	v_and_or_b32 v4, v12, 7, v4
; %bb.281:
	s_and_not1_saveexec_b32 s0, s0
; %bb.282:
	v_dual_mov_b32 v4, v6 :: v_dual_mov_b32 v5, v7
; %bb.283:
	s_or_b32 exec_lo, exec_lo, s0
.LBB6_284:
	s_delay_alu instid0(SALU_CYCLE_1)
	s_or_b32 exec_lo, exec_lo, s5
.LBB6_285:
	s_and_not1_saveexec_b32 s0, s4
	s_delay_alu instid0(SALU_CYCLE_1)
	s_or_b32 exec_lo, exec_lo, s0
                                        ; implicit-def: $vgpr5
                                        ; implicit-def: $vgpr12_vgpr13
.LBB6_286:
	s_and_not1_saveexec_b32 s0, s3
; %bb.287:
	v_cmp_eq_u64_e32 vcc_lo, 0, v[12:13]
	v_or_b32_e32 v5, 0x7f, v5
	s_delay_alu instid0(VALU_DEP_1)
	v_cndmask_b32_e32 v4, v5, v4, vcc_lo
; %bb.288:
	s_or_b32 exec_lo, exec_lo, s0
	v_dual_mov_b32 v13, 0 :: v_dual_and_b32 v0, 0xffff0000, v0
	s_mov_b32 s0, 0x43e00000
	s_delay_alu instid0(VALU_DEP_1) | instskip(NEXT) | instid1(VALU_DEP_2)
	v_mul_f32_e32 v0, v21, v0
	v_mov_b32_e32 v15, v13
	s_delay_alu instid0(VALU_DEP_2) | instskip(SKIP_1) | instid1(VALU_DEP_1)
	v_minmax_f32 v7, v0, s0, 0xc3e00000
	s_mov_b32 s0, exec_lo
	v_lshrrev_b32_e32 v6, 24, v7
	v_and_b32_e32 v14, 0x7f800000, v7
	v_and_b32_e32 v12, 0x7fffff, v7
	s_delay_alu instid0(VALU_DEP_3) | instskip(NEXT) | instid1(VALU_DEP_1)
	v_and_b32_e32 v0, 0x80, v6
	v_or_b32_e32 v5, 0x7e, v0
	s_delay_alu instid0(VALU_DEP_4)
	v_cmpx_ne_u64_e32 0x7f800000, v[14:15]
	s_xor_b32 s3, exec_lo, s0
	s_cbranch_execz .LBB6_302
; %bb.289:
	v_dual_mov_b32 v15, v13 :: v_dual_and_b32 v14, 0x7fffffff, v7
	s_mov_b32 s0, exec_lo
	s_delay_alu instid0(VALU_DEP_1)
	v_cmpx_gt_u64_e32 0x43e00001, v[14:15]
	s_xor_b32 s4, exec_lo, s0
	s_cbranch_execz .LBB6_301
; %bb.290:
	s_mov_b32 s5, exec_lo
	v_mov_b32_e32 v5, 0
	v_mov_b32_e32 v6, 0
	v_cmpx_ne_u32_e32 0, v7
	s_cbranch_execz .LBB6_300
; %bb.291:
	v_bfe_u32 v7, v7, 23, 8
	s_delay_alu instid0(VALU_DEP_1) | instskip(SKIP_2) | instid1(VALU_DEP_3)
	v_sub_nc_u32_e64 v5, 0x79, v7 clamp
	v_cmp_eq_u32_e32 vcc_lo, 0, v7
	v_add_nc_u32_e32 v7, 0xffffff88, v7
	v_cndmask_b32_e64 v15, v5, 0x78, vcc_lo
	v_or_b32_e32 v5, 0x800000, v12
	s_delay_alu instid0(VALU_DEP_2) | instskip(NEXT) | instid1(VALU_DEP_2)
	v_add_nc_u32_e32 v6, 20, v15
	v_cndmask_b32_e32 v12, v5, v12, vcc_lo
	v_add_nc_u32_e32 v18, 19, v15
	s_delay_alu instid0(VALU_DEP_3) | instskip(NEXT) | instid1(VALU_DEP_3)
	v_lshlrev_b64 v[5:6], v6, -1
	v_lshrrev_b64 v[16:17], v15, v[12:13]
	v_mov_b32_e32 v14, 0
	s_delay_alu instid0(VALU_DEP_3) | instskip(NEXT) | instid1(VALU_DEP_3)
	v_not_b32_e32 v23, v6
	v_and_b32_e32 v13, 0x100000, v16
	v_not_b32_e32 v25, v5
	v_lshlrev_b64 v[5:6], v18, 1
	s_delay_alu instid0(VALU_DEP_4) | instskip(NEXT) | instid1(VALU_DEP_4)
	v_and_b32_e32 v24, 0, v23
	v_cmp_eq_u64_e64 s0, 0, v[13:14]
	s_delay_alu instid0(VALU_DEP_4) | instskip(NEXT) | instid1(VALU_DEP_1)
	v_and_b32_e32 v23, v12, v25
	v_cmp_eq_u64_e64 s1, v[23:24], v[5:6]
	v_cndmask_b32_e64 v5, v7, 0xffffff89, vcc_lo
	v_lshrrev_b32_e32 v6, 23, v16
	s_delay_alu instid0(VALU_DEP_3) | instskip(NEXT) | instid1(VALU_DEP_1)
	s_and_b32 vcc_lo, s0, s1
	v_add3_u32 v12, v5, v15, v6
	v_subrev_co_ci_u32_e32 v7, vcc_lo, 0, v16, vcc_lo
	s_mov_b32 s0, exec_lo
	s_delay_alu instid0(VALU_DEP_2) | instskip(NEXT) | instid1(VALU_DEP_2)
	v_add_nc_u32_e32 v15, -1, v12
	v_and_b32_e32 v5, 0xfffff, v7
                                        ; implicit-def: $vgpr7
	s_delay_alu instid0(VALU_DEP_1) | instskip(SKIP_1) | instid1(VALU_DEP_4)
	v_add_co_u32 v5, vcc_lo, v5, v16
	v_add_co_ci_u32_e32 v6, vcc_lo, 0, v17, vcc_lo
	v_cmpx_ne_u32_e32 0, v15
	s_xor_b32 s0, exec_lo, s0
; %bb.292:
	s_delay_alu instid0(VALU_DEP_3) | instskip(SKIP_1) | instid1(VALU_DEP_2)
	v_and_b32_e32 v13, 0x1000000, v5
	v_bfe_u32 v7, v5, 24, 1
	v_cmp_eq_u64_e32 vcc_lo, 0, v[13:14]
	s_delay_alu instid0(VALU_DEP_2)
	v_lshrrev_b64 v[5:6], v7, v[5:6]
	v_cndmask_b32_e32 v7, v12, v15, vcc_lo
; %bb.293:
	s_and_not1_saveexec_b32 s0, s0
; %bb.294:
	s_delay_alu instid0(VALU_DEP_2)
	v_bfe_u32 v7, v5, 23, 1
; %bb.295:
	s_or_b32 exec_lo, exec_lo, s0
	s_delay_alu instid0(VALU_DEP_3) | instskip(NEXT) | instid1(VALU_DEP_2)
	v_lshrrev_b64 v[5:6], 20, v[5:6]
	v_cmp_gt_i32_e32 vcc_lo, 16, v7
	v_cmp_ne_u32_e64 s0, 0, v7
	s_delay_alu instid0(VALU_DEP_3) | instskip(NEXT) | instid1(VALU_DEP_1)
	v_dual_cndmask_b32 v13, 0, v6 :: v_dual_cndmask_b32 v12, 7, v5
                                        ; implicit-def: $vgpr5_vgpr6
	v_cmp_ne_u64_e32 vcc_lo, 0, v[12:13]
	s_delay_alu instid0(VALU_DEP_3) | instskip(NEXT) | instid1(SALU_CYCLE_1)
	s_or_b32 s0, s0, vcc_lo
	s_and_saveexec_b32 s1, s0
	s_delay_alu instid0(SALU_CYCLE_1)
	s_xor_b32 s0, exec_lo, s1
; %bb.296:
	v_min_i32_e32 v5, 15, v7
	s_delay_alu instid0(VALU_DEP_1) | instskip(NEXT) | instid1(VALU_DEP_1)
	v_lshl_or_b32 v0, v5, 3, v0
	v_and_or_b32 v5, v12, 7, v0
                                        ; implicit-def: $vgpr0
; %bb.297:
	s_and_not1_saveexec_b32 s0, s0
; %bb.298:
	v_dual_mov_b32 v6, v1 :: v_dual_mov_b32 v5, v0
; %bb.299:
	s_or_b32 exec_lo, exec_lo, s0
.LBB6_300:
	s_delay_alu instid0(SALU_CYCLE_1)
	s_or_b32 exec_lo, exec_lo, s5
.LBB6_301:
	s_and_not1_saveexec_b32 s0, s4
	s_delay_alu instid0(SALU_CYCLE_1)
	s_or_b32 exec_lo, exec_lo, s0
                                        ; implicit-def: $vgpr6
                                        ; implicit-def: $vgpr12_vgpr13
.LBB6_302:
	s_and_not1_saveexec_b32 s0, s3
; %bb.303:
	v_cmp_eq_u64_e32 vcc_lo, 0, v[12:13]
	v_or_b32_e32 v0, 0x7f, v6
	s_delay_alu instid0(VALU_DEP_1)
	v_cndmask_b32_e32 v5, v0, v5, vcc_lo
; %bb.304:
	s_or_b32 exec_lo, exec_lo, s0
	v_dual_mov_b32 v13, 0 :: v_dual_lshlrev_b32 v0, 16, v1
	s_mov_b32 s0, 0x43e00000
	s_delay_alu instid0(VALU_DEP_1) | instskip(NEXT) | instid1(VALU_DEP_2)
	v_mul_f32_e32 v0, v21, v0
	v_mov_b32_e32 v16, v13
	s_delay_alu instid0(VALU_DEP_2) | instskip(SKIP_1) | instid1(VALU_DEP_1)
	v_minmax_f32 v14, v0, s0, 0xc3e00000
	s_mov_b32 s0, exec_lo
	v_and_b32_e32 v15, 0x7f800000, v14
	v_lshrrev_b32_e32 v7, 24, v14
	v_and_b32_e32 v12, 0x7fffff, v14
	s_delay_alu instid0(VALU_DEP_2) | instskip(NEXT) | instid1(VALU_DEP_1)
	v_and_b32_e32 v0, 0x80, v7
	v_or_b32_e32 v6, 0x7e, v0
	v_cmpx_ne_u64_e32 0x7f800000, v[15:16]
	s_xor_b32 s3, exec_lo, s0
	s_cbranch_execz .LBB6_318
; %bb.305:
	v_dual_mov_b32 v16, v13 :: v_dual_and_b32 v15, 0x7fffffff, v14
	s_mov_b32 s0, exec_lo
	s_delay_alu instid0(VALU_DEP_1)
	v_cmpx_gt_u64_e32 0x43e00001, v[15:16]
	s_xor_b32 s4, exec_lo, s0
	s_cbranch_execz .LBB6_317
; %bb.306:
	s_mov_b32 s5, exec_lo
	v_mov_b32_e32 v6, 0
	v_mov_b32_e32 v7, 0
	v_cmpx_ne_u32_e32 0, v14
	s_cbranch_execz .LBB6_316
; %bb.307:
	v_bfe_u32 v23, v14, 23, 8
	v_mov_b32_e32 v14, 0
	s_delay_alu instid0(VALU_DEP_2) | instskip(SKIP_1) | instid1(VALU_DEP_2)
	v_sub_nc_u32_e64 v6, 0x79, v23 clamp
	v_cmp_eq_u32_e32 vcc_lo, 0, v23
	v_cndmask_b32_e64 v24, v6, 0x78, vcc_lo
	v_or_b32_e32 v6, 0x800000, v12
	s_delay_alu instid0(VALU_DEP_2) | instskip(NEXT) | instid1(VALU_DEP_2)
	v_add_nc_u32_e32 v7, 20, v24
	v_cndmask_b32_e32 v12, v6, v12, vcc_lo
	v_add_nc_u32_e32 v15, 19, v24
	s_delay_alu instid0(VALU_DEP_3) | instskip(NEXT) | instid1(VALU_DEP_3)
	v_lshlrev_b64 v[6:7], v7, -1
	v_lshrrev_b64 v[17:18], v24, v[12:13]
	s_delay_alu instid0(VALU_DEP_2) | instskip(NEXT) | instid1(VALU_DEP_2)
	v_not_b32_e32 v16, v7
	v_and_b32_e32 v13, 0x100000, v17
	s_delay_alu instid0(VALU_DEP_4) | instskip(SKIP_1) | instid1(VALU_DEP_4)
	v_not_b32_e32 v25, v6
	v_lshlrev_b64 v[6:7], v15, 1
	v_and_b32_e32 v16, 0, v16
	s_delay_alu instid0(VALU_DEP_4) | instskip(NEXT) | instid1(VALU_DEP_4)
	v_cmp_eq_u64_e64 s0, 0, v[13:14]
	v_and_b32_e32 v15, v12, v25
	v_add_nc_u32_e32 v12, 0xffffff88, v23
	s_delay_alu instid0(VALU_DEP_2) | instskip(NEXT) | instid1(VALU_DEP_2)
	v_cmp_eq_u64_e64 s1, v[15:16], v[6:7]
	v_cndmask_b32_e64 v6, v12, 0xffffff89, vcc_lo
	v_lshrrev_b32_e32 v7, 23, v17
                                        ; implicit-def: $vgpr15
	s_delay_alu instid0(VALU_DEP_3) | instskip(NEXT) | instid1(VALU_DEP_1)
	s_and_b32 vcc_lo, s0, s1
	v_add3_u32 v12, v6, v24, v7
	v_subrev_co_ci_u32_e32 v13, vcc_lo, 0, v17, vcc_lo
	s_mov_b32 s0, exec_lo
	s_delay_alu instid0(VALU_DEP_2) | instskip(NEXT) | instid1(VALU_DEP_2)
	v_add_nc_u32_e32 v16, -1, v12
	v_and_b32_e32 v6, 0xfffff, v13
	s_delay_alu instid0(VALU_DEP_1) | instskip(SKIP_1) | instid1(VALU_DEP_4)
	v_add_co_u32 v6, vcc_lo, v6, v17
	v_add_co_ci_u32_e32 v7, vcc_lo, 0, v18, vcc_lo
	v_cmpx_ne_u32_e32 0, v16
	s_xor_b32 s0, exec_lo, s0
; %bb.308:
	s_delay_alu instid0(VALU_DEP_3) | instskip(SKIP_1) | instid1(VALU_DEP_2)
	v_and_b32_e32 v13, 0x1000000, v6
	v_bfe_u32 v15, v6, 24, 1
	v_cmp_eq_u64_e32 vcc_lo, 0, v[13:14]
	s_delay_alu instid0(VALU_DEP_2)
	v_lshrrev_b64 v[6:7], v15, v[6:7]
	v_cndmask_b32_e32 v15, v12, v16, vcc_lo
; %bb.309:
	s_and_not1_saveexec_b32 s0, s0
; %bb.310:
	s_delay_alu instid0(VALU_DEP_2)
	v_bfe_u32 v15, v6, 23, 1
; %bb.311:
	s_or_b32 exec_lo, exec_lo, s0
	s_delay_alu instid0(VALU_DEP_3) | instskip(NEXT) | instid1(VALU_DEP_2)
	v_lshrrev_b64 v[6:7], 20, v[6:7]
	v_cmp_gt_i32_e32 vcc_lo, 16, v15
	v_cmp_ne_u32_e64 s0, 0, v15
	s_delay_alu instid0(VALU_DEP_3) | instskip(NEXT) | instid1(VALU_DEP_1)
	v_dual_cndmask_b32 v13, 0, v7 :: v_dual_cndmask_b32 v12, 7, v6
                                        ; implicit-def: $vgpr6_vgpr7
	v_cmp_ne_u64_e32 vcc_lo, 0, v[12:13]
	s_delay_alu instid0(VALU_DEP_3) | instskip(NEXT) | instid1(SALU_CYCLE_1)
	s_or_b32 s0, s0, vcc_lo
	s_and_saveexec_b32 s1, s0
	s_delay_alu instid0(SALU_CYCLE_1)
	s_xor_b32 s0, exec_lo, s1
; %bb.312:
	v_min_i32_e32 v6, 15, v15
	s_delay_alu instid0(VALU_DEP_1) | instskip(NEXT) | instid1(VALU_DEP_1)
	v_lshl_or_b32 v0, v6, 3, v0
	v_and_or_b32 v6, v12, 7, v0
                                        ; implicit-def: $vgpr0
; %bb.313:
	s_and_not1_saveexec_b32 s0, s0
; %bb.314:
	v_dual_mov_b32 v7, v1 :: v_dual_mov_b32 v6, v0
; %bb.315:
	s_or_b32 exec_lo, exec_lo, s0
.LBB6_316:
	s_delay_alu instid0(SALU_CYCLE_1)
	s_or_b32 exec_lo, exec_lo, s5
.LBB6_317:
	s_and_not1_saveexec_b32 s0, s4
	s_delay_alu instid0(SALU_CYCLE_1)
	s_or_b32 exec_lo, exec_lo, s0
                                        ; implicit-def: $vgpr7
                                        ; implicit-def: $vgpr12_vgpr13
.LBB6_318:
	s_and_not1_saveexec_b32 s0, s3
; %bb.319:
	v_cmp_eq_u64_e32 vcc_lo, 0, v[12:13]
	v_or_b32_e32 v0, 0x7f, v7
	s_delay_alu instid0(VALU_DEP_1)
	v_cndmask_b32_e32 v6, v0, v6, vcc_lo
; %bb.320:
	s_or_b32 exec_lo, exec_lo, s0
	v_dual_mov_b32 v13, 0 :: v_dual_and_b32 v0, 0xffff0000, v1
	s_mov_b32 s0, 0x43e00000
	s_delay_alu instid0(VALU_DEP_1) | instskip(NEXT) | instid1(VALU_DEP_1)
	v_mul_f32_e32 v0, v21, v0
	v_minmax_f32 v14, v0, s0, 0xc3e00000
	s_mov_b32 s0, exec_lo
	s_delay_alu instid0(VALU_DEP_1) | instskip(SKIP_3) | instid1(VALU_DEP_3)
	v_and_b32_e32 v15, 0x7f800000, v14
	v_lshrrev_b32_e32 v1, 24, v14
	v_mov_b32_e32 v16, v13
	v_and_b32_e32 v12, 0x7fffff, v14
	v_and_b32_e32 v7, 0x80, v1
	s_delay_alu instid0(VALU_DEP_1) | instskip(NEXT) | instid1(VALU_DEP_4)
	v_or_b32_e32 v0, 0x7e, v7
	v_cmpx_ne_u64_e32 0x7f800000, v[15:16]
	s_xor_b32 s3, exec_lo, s0
	s_cbranch_execz .LBB6_334
; %bb.321:
	v_dual_mov_b32 v16, v13 :: v_dual_and_b32 v15, 0x7fffffff, v14
	s_mov_b32 s0, exec_lo
	s_delay_alu instid0(VALU_DEP_1)
	v_cmpx_gt_u64_e32 0x43e00001, v[15:16]
	s_xor_b32 s4, exec_lo, s0
	s_cbranch_execz .LBB6_333
; %bb.322:
	s_mov_b32 s5, exec_lo
	v_mov_b32_e32 v0, 0
	v_mov_b32_e32 v1, 0
	v_cmpx_ne_u32_e32 0, v14
	s_cbranch_execz .LBB6_332
; %bb.323:
	v_bfe_u32 v23, v14, 23, 8
	v_mov_b32_e32 v14, 0
	s_delay_alu instid0(VALU_DEP_2) | instskip(SKIP_1) | instid1(VALU_DEP_2)
	v_sub_nc_u32_e64 v0, 0x79, v23 clamp
	v_cmp_eq_u32_e32 vcc_lo, 0, v23
	v_cndmask_b32_e64 v24, v0, 0x78, vcc_lo
	v_or_b32_e32 v0, 0x800000, v12
	s_delay_alu instid0(VALU_DEP_2) | instskip(NEXT) | instid1(VALU_DEP_2)
	v_add_nc_u32_e32 v1, 20, v24
	v_cndmask_b32_e32 v12, v0, v12, vcc_lo
	v_add_nc_u32_e32 v15, 19, v24
	s_delay_alu instid0(VALU_DEP_3) | instskip(NEXT) | instid1(VALU_DEP_3)
	v_lshlrev_b64 v[0:1], v1, -1
	v_lshrrev_b64 v[17:18], v24, v[12:13]
	s_delay_alu instid0(VALU_DEP_2) | instskip(NEXT) | instid1(VALU_DEP_2)
	v_not_b32_e32 v16, v1
	v_and_b32_e32 v13, 0x100000, v17
	s_delay_alu instid0(VALU_DEP_4) | instskip(SKIP_1) | instid1(VALU_DEP_4)
	v_not_b32_e32 v25, v0
	v_lshlrev_b64 v[0:1], v15, 1
	v_and_b32_e32 v16, 0, v16
	s_delay_alu instid0(VALU_DEP_4) | instskip(NEXT) | instid1(VALU_DEP_4)
	v_cmp_eq_u64_e64 s0, 0, v[13:14]
	v_and_b32_e32 v15, v12, v25
	v_add_nc_u32_e32 v12, 0xffffff88, v23
	s_delay_alu instid0(VALU_DEP_2) | instskip(NEXT) | instid1(VALU_DEP_2)
	v_cmp_eq_u64_e64 s1, v[15:16], v[0:1]
	v_cndmask_b32_e64 v0, v12, 0xffffff89, vcc_lo
	v_lshrrev_b32_e32 v1, 23, v17
                                        ; implicit-def: $vgpr15
	s_delay_alu instid0(VALU_DEP_3) | instskip(NEXT) | instid1(VALU_DEP_1)
	s_and_b32 vcc_lo, s0, s1
	v_add3_u32 v12, v0, v24, v1
	v_subrev_co_ci_u32_e32 v13, vcc_lo, 0, v17, vcc_lo
	s_mov_b32 s0, exec_lo
	s_delay_alu instid0(VALU_DEP_2) | instskip(NEXT) | instid1(VALU_DEP_2)
	v_add_nc_u32_e32 v16, -1, v12
	v_and_b32_e32 v0, 0xfffff, v13
	s_delay_alu instid0(VALU_DEP_1) | instskip(SKIP_1) | instid1(VALU_DEP_4)
	v_add_co_u32 v0, vcc_lo, v0, v17
	v_add_co_ci_u32_e32 v1, vcc_lo, 0, v18, vcc_lo
	v_cmpx_ne_u32_e32 0, v16
	s_xor_b32 s0, exec_lo, s0
; %bb.324:
	s_delay_alu instid0(VALU_DEP_3) | instskip(SKIP_1) | instid1(VALU_DEP_2)
	v_and_b32_e32 v13, 0x1000000, v0
	v_bfe_u32 v15, v0, 24, 1
	v_cmp_eq_u64_e32 vcc_lo, 0, v[13:14]
	s_delay_alu instid0(VALU_DEP_2)
	v_lshrrev_b64 v[0:1], v15, v[0:1]
	v_cndmask_b32_e32 v15, v12, v16, vcc_lo
; %bb.325:
	s_and_not1_saveexec_b32 s0, s0
; %bb.326:
	s_delay_alu instid0(VALU_DEP_2)
	v_bfe_u32 v15, v0, 23, 1
; %bb.327:
	s_or_b32 exec_lo, exec_lo, s0
	s_delay_alu instid0(VALU_DEP_3) | instskip(NEXT) | instid1(VALU_DEP_2)
	v_lshrrev_b64 v[0:1], 20, v[0:1]
	v_cmp_gt_i32_e32 vcc_lo, 16, v15
	v_cmp_ne_u32_e64 s0, 0, v15
	s_delay_alu instid0(VALU_DEP_3) | instskip(NEXT) | instid1(VALU_DEP_1)
	v_dual_cndmask_b32 v13, 0, v1 :: v_dual_cndmask_b32 v12, 7, v0
                                        ; implicit-def: $vgpr0_vgpr1
	v_cmp_ne_u64_e32 vcc_lo, 0, v[12:13]
	s_delay_alu instid0(VALU_DEP_3) | instskip(NEXT) | instid1(SALU_CYCLE_1)
	s_or_b32 s0, s0, vcc_lo
	s_and_saveexec_b32 s1, s0
	s_delay_alu instid0(SALU_CYCLE_1)
	s_xor_b32 s0, exec_lo, s1
; %bb.328:
	v_min_i32_e32 v0, 15, v15
	s_delay_alu instid0(VALU_DEP_1) | instskip(NEXT) | instid1(VALU_DEP_1)
	v_lshl_or_b32 v0, v0, 3, v7
                                        ; implicit-def: $vgpr7
	v_and_or_b32 v0, v12, 7, v0
; %bb.329:
	s_and_not1_saveexec_b32 s0, s0
; %bb.330:
	v_dual_mov_b32 v0, v7 :: v_dual_mov_b32 v1, v8
; %bb.331:
	s_or_b32 exec_lo, exec_lo, s0
.LBB6_332:
	s_delay_alu instid0(SALU_CYCLE_1)
	s_or_b32 exec_lo, exec_lo, s5
.LBB6_333:
	s_and_not1_saveexec_b32 s0, s4
	s_delay_alu instid0(SALU_CYCLE_1)
	s_or_b32 exec_lo, exec_lo, s0
                                        ; implicit-def: $vgpr1
                                        ; implicit-def: $vgpr12_vgpr13
.LBB6_334:
	s_and_not1_saveexec_b32 s0, s3
; %bb.335:
	v_cmp_eq_u64_e32 vcc_lo, 0, v[12:13]
	v_or_b32_e32 v1, 0x7f, v1
	s_delay_alu instid0(VALU_DEP_1)
	v_cndmask_b32_e32 v0, v1, v0, vcc_lo
; %bb.336:
	s_or_b32 exec_lo, exec_lo, s0
	v_lshlrev_b32_e32 v1, 16, v2
	s_mov_b32 s0, 0x43e00000
	s_delay_alu instid0(VALU_DEP_1) | instskip(NEXT) | instid1(VALU_DEP_1)
	v_mul_f32_e32 v1, v21, v1
	v_minmax_f32 v7, v1, s0, 0xc3e00000
	v_mov_b32_e32 v15, 0
	s_mov_b32 s0, exec_lo
	s_delay_alu instid0(VALU_DEP_2) | instskip(SKIP_1) | instid1(VALU_DEP_3)
	v_and_b32_e32 v14, 0x7fffff, v7
	v_lshrrev_b32_e32 v13, 24, v7
	v_dual_mov_b32 v17, v15 :: v_dual_and_b32 v16, 0x7f800000, v7
	s_delay_alu instid0(VALU_DEP_2) | instskip(NEXT) | instid1(VALU_DEP_1)
	v_and_b32_e32 v1, 0x80, v13
	v_or_b32_e32 v12, 0x7e, v1
	s_delay_alu instid0(VALU_DEP_3)
	v_cmpx_ne_u64_e32 0x7f800000, v[16:17]
	s_xor_b32 s3, exec_lo, s0
	s_cbranch_execz .LBB6_350
; %bb.337:
	v_dual_mov_b32 v17, v15 :: v_dual_and_b32 v16, 0x7fffffff, v7
	s_mov_b32 s0, exec_lo
	s_delay_alu instid0(VALU_DEP_1)
	v_cmpx_gt_u64_e32 0x43e00001, v[16:17]
	s_xor_b32 s4, exec_lo, s0
	s_cbranch_execz .LBB6_349
; %bb.338:
	s_mov_b32 s5, exec_lo
	v_mov_b32_e32 v12, 0
	v_mov_b32_e32 v13, 0
	v_cmpx_ne_u32_e32 0, v7
	s_cbranch_execz .LBB6_348
; %bb.339:
	v_bfe_u32 v7, v7, 23, 8
	v_mov_b32_e32 v16, 0
	s_delay_alu instid0(VALU_DEP_2) | instskip(SKIP_2) | instid1(VALU_DEP_3)
	v_sub_nc_u32_e64 v12, 0x79, v7 clamp
	v_cmp_eq_u32_e32 vcc_lo, 0, v7
	v_add_nc_u32_e32 v7, 0xffffff88, v7
	v_cndmask_b32_e64 v25, v12, 0x78, vcc_lo
	v_or_b32_e32 v12, 0x800000, v14
	s_delay_alu instid0(VALU_DEP_3) | instskip(NEXT) | instid1(VALU_DEP_2)
	v_cndmask_b32_e64 v7, v7, 0xffffff89, vcc_lo
	v_dual_cndmask_b32 v14, v12, v14 :: v_dual_add_nc_u32 v13, 20, v25
	v_add_nc_u32_e32 v17, 19, v25
	s_delay_alu instid0(VALU_DEP_2) | instskip(NEXT) | instid1(VALU_DEP_3)
	v_lshlrev_b64 v[12:13], v13, -1
	v_lshrrev_b64 v[23:24], v25, v[14:15]
	s_delay_alu instid0(VALU_DEP_2) | instskip(NEXT) | instid1(VALU_DEP_3)
	v_not_b32_e32 v18, v13
	v_not_b32_e32 v26, v12
	v_lshlrev_b64 v[12:13], v17, 1
	s_delay_alu instid0(VALU_DEP_4) | instskip(NEXT) | instid1(VALU_DEP_4)
	v_and_b32_e32 v15, 0x100000, v23
	v_and_b32_e32 v18, 0, v18
	s_delay_alu instid0(VALU_DEP_4) | instskip(NEXT) | instid1(VALU_DEP_3)
	v_and_b32_e32 v17, v14, v26
	v_cmp_eq_u64_e64 s0, 0, v[15:16]
	s_delay_alu instid0(VALU_DEP_2) | instskip(SKIP_1) | instid1(VALU_DEP_1)
	v_cmp_eq_u64_e64 s1, v[17:18], v[12:13]
	v_lshrrev_b32_e32 v12, 23, v23
	v_add3_u32 v14, v7, v25, v12
	s_delay_alu instid0(VALU_DEP_3) | instskip(SKIP_2) | instid1(VALU_DEP_2)
	s_and_b32 vcc_lo, s0, s1
	s_mov_b32 s0, exec_lo
	v_subrev_co_ci_u32_e32 v13, vcc_lo, 0, v23, vcc_lo
	v_add_nc_u32_e32 v17, -1, v14
	s_delay_alu instid0(VALU_DEP_2) | instskip(NEXT) | instid1(VALU_DEP_1)
	v_and_b32_e32 v7, 0xfffff, v13
	v_add_co_u32 v12, vcc_lo, v7, v23
	v_add_co_ci_u32_e32 v13, vcc_lo, 0, v24, vcc_lo
                                        ; implicit-def: $vgpr7
	s_delay_alu instid0(VALU_DEP_4)
	v_cmpx_ne_u32_e32 0, v17
	s_xor_b32 s0, exec_lo, s0
; %bb.340:
	s_delay_alu instid0(VALU_DEP_3) | instskip(SKIP_1) | instid1(VALU_DEP_2)
	v_and_b32_e32 v15, 0x1000000, v12
	v_bfe_u32 v7, v12, 24, 1
	v_cmp_eq_u64_e32 vcc_lo, 0, v[15:16]
	s_delay_alu instid0(VALU_DEP_2)
	v_lshrrev_b64 v[12:13], v7, v[12:13]
	v_cndmask_b32_e32 v7, v14, v17, vcc_lo
; %bb.341:
	s_and_not1_saveexec_b32 s0, s0
; %bb.342:
	s_delay_alu instid0(VALU_DEP_2)
	v_bfe_u32 v7, v12, 23, 1
; %bb.343:
	s_or_b32 exec_lo, exec_lo, s0
	s_delay_alu instid0(VALU_DEP_3) | instskip(NEXT) | instid1(VALU_DEP_2)
	v_lshrrev_b64 v[12:13], 20, v[12:13]
	v_cmp_gt_i32_e32 vcc_lo, 16, v7
	v_cmp_ne_u32_e64 s0, 0, v7
	s_delay_alu instid0(VALU_DEP_3) | instskip(NEXT) | instid1(VALU_DEP_1)
	v_dual_cndmask_b32 v15, 0, v13 :: v_dual_cndmask_b32 v14, 7, v12
                                        ; implicit-def: $vgpr12_vgpr13
	v_cmp_ne_u64_e32 vcc_lo, 0, v[14:15]
	s_delay_alu instid0(VALU_DEP_3) | instskip(NEXT) | instid1(SALU_CYCLE_1)
	s_or_b32 s0, s0, vcc_lo
	s_and_saveexec_b32 s1, s0
	s_delay_alu instid0(SALU_CYCLE_1)
	s_xor_b32 s0, exec_lo, s1
; %bb.344:
	v_min_i32_e32 v7, 15, v7
	s_delay_alu instid0(VALU_DEP_1) | instskip(NEXT) | instid1(VALU_DEP_1)
	v_lshl_or_b32 v1, v7, 3, v1
	v_and_or_b32 v12, v14, 7, v1
                                        ; implicit-def: $vgpr1
; %bb.345:
	s_and_not1_saveexec_b32 s0, s0
; %bb.346:
	v_dual_mov_b32 v13, v2 :: v_dual_mov_b32 v12, v1
; %bb.347:
	s_or_b32 exec_lo, exec_lo, s0
.LBB6_348:
	s_delay_alu instid0(SALU_CYCLE_1)
	s_or_b32 exec_lo, exec_lo, s5
.LBB6_349:
	s_and_not1_saveexec_b32 s0, s4
	s_delay_alu instid0(SALU_CYCLE_1)
	s_or_b32 exec_lo, exec_lo, s0
                                        ; implicit-def: $vgpr13
                                        ; implicit-def: $vgpr14_vgpr15
.LBB6_350:
	s_and_not1_saveexec_b32 s0, s3
; %bb.351:
	v_cmp_eq_u64_e32 vcc_lo, 0, v[14:15]
	v_or_b32_e32 v1, 0x7f, v13
	s_delay_alu instid0(VALU_DEP_1)
	v_cndmask_b32_e32 v12, v1, v12, vcc_lo
; %bb.352:
	s_or_b32 exec_lo, exec_lo, s0
	v_dual_mov_b32 v14, 0 :: v_dual_and_b32 v1, 0xffff0000, v2
	s_mov_b32 s0, 0x43e00000
	s_delay_alu instid0(VALU_DEP_1) | instskip(NEXT) | instid1(VALU_DEP_2)
	v_mul_f32_e32 v1, v21, v1
	v_mov_b32_e32 v17, v14
	s_delay_alu instid0(VALU_DEP_2) | instskip(SKIP_1) | instid1(VALU_DEP_1)
	v_minmax_f32 v15, v1, s0, 0xc3e00000
	s_mov_b32 s0, exec_lo
	v_and_b32_e32 v16, 0x7f800000, v15
	v_lshrrev_b32_e32 v2, 24, v15
	v_and_b32_e32 v13, 0x7fffff, v15
	s_delay_alu instid0(VALU_DEP_2) | instskip(NEXT) | instid1(VALU_DEP_1)
	v_and_b32_e32 v7, 0x80, v2
	v_or_b32_e32 v1, 0x7e, v7
	v_cmpx_ne_u64_e32 0x7f800000, v[16:17]
	s_xor_b32 s3, exec_lo, s0
	s_cbranch_execz .LBB6_366
; %bb.353:
	v_dual_mov_b32 v17, v14 :: v_dual_and_b32 v16, 0x7fffffff, v15
	s_mov_b32 s0, exec_lo
	s_delay_alu instid0(VALU_DEP_1)
	v_cmpx_gt_u64_e32 0x43e00001, v[16:17]
	s_xor_b32 s4, exec_lo, s0
	s_cbranch_execz .LBB6_365
; %bb.354:
	s_mov_b32 s5, exec_lo
	v_mov_b32_e32 v1, 0
	v_mov_b32_e32 v2, 0
	v_cmpx_ne_u32_e32 0, v15
	s_cbranch_execz .LBB6_364
; %bb.355:
	v_bfe_u32 v18, v15, 23, 8
	v_mov_b32_e32 v15, 0
	s_delay_alu instid0(VALU_DEP_2) | instskip(SKIP_1) | instid1(VALU_DEP_2)
	v_sub_nc_u32_e64 v1, 0x79, v18 clamp
	v_cmp_eq_u32_e32 vcc_lo, 0, v18
	v_cndmask_b32_e64 v25, v1, 0x78, vcc_lo
	v_or_b32_e32 v1, 0x800000, v13
	s_delay_alu instid0(VALU_DEP_2) | instskip(NEXT) | instid1(VALU_DEP_2)
	v_add_nc_u32_e32 v2, 20, v25
	v_cndmask_b32_e32 v13, v1, v13, vcc_lo
	v_add_nc_u32_e32 v16, 19, v25
	s_delay_alu instid0(VALU_DEP_3) | instskip(NEXT) | instid1(VALU_DEP_3)
	v_lshlrev_b64 v[1:2], v2, -1
	v_lshrrev_b64 v[23:24], v25, v[13:14]
	s_delay_alu instid0(VALU_DEP_2) | instskip(NEXT) | instid1(VALU_DEP_2)
	v_not_b32_e32 v17, v2
	v_and_b32_e32 v14, 0x100000, v23
	s_delay_alu instid0(VALU_DEP_4) | instskip(SKIP_1) | instid1(VALU_DEP_4)
	v_not_b32_e32 v26, v1
	v_lshlrev_b64 v[1:2], v16, 1
	v_and_b32_e32 v17, 0, v17
	s_delay_alu instid0(VALU_DEP_4) | instskip(NEXT) | instid1(VALU_DEP_4)
	v_cmp_eq_u64_e64 s0, 0, v[14:15]
	v_and_b32_e32 v16, v13, v26
	v_add_nc_u32_e32 v13, 0xffffff88, v18
	s_delay_alu instid0(VALU_DEP_2) | instskip(NEXT) | instid1(VALU_DEP_2)
	v_cmp_eq_u64_e64 s1, v[16:17], v[1:2]
	v_cndmask_b32_e64 v1, v13, 0xffffff89, vcc_lo
	v_lshrrev_b32_e32 v2, 23, v23
                                        ; implicit-def: $vgpr16
	s_delay_alu instid0(VALU_DEP_3) | instskip(NEXT) | instid1(VALU_DEP_1)
	s_and_b32 vcc_lo, s0, s1
	v_add3_u32 v13, v1, v25, v2
	v_subrev_co_ci_u32_e32 v14, vcc_lo, 0, v23, vcc_lo
	s_mov_b32 s0, exec_lo
	s_delay_alu instid0(VALU_DEP_2) | instskip(NEXT) | instid1(VALU_DEP_2)
	v_add_nc_u32_e32 v17, -1, v13
	v_and_b32_e32 v1, 0xfffff, v14
	s_delay_alu instid0(VALU_DEP_1) | instskip(SKIP_1) | instid1(VALU_DEP_4)
	v_add_co_u32 v1, vcc_lo, v1, v23
	v_add_co_ci_u32_e32 v2, vcc_lo, 0, v24, vcc_lo
	v_cmpx_ne_u32_e32 0, v17
	s_xor_b32 s0, exec_lo, s0
; %bb.356:
	s_delay_alu instid0(VALU_DEP_3) | instskip(SKIP_1) | instid1(VALU_DEP_2)
	v_and_b32_e32 v14, 0x1000000, v1
	v_bfe_u32 v16, v1, 24, 1
	v_cmp_eq_u64_e32 vcc_lo, 0, v[14:15]
	s_delay_alu instid0(VALU_DEP_2)
	v_lshrrev_b64 v[1:2], v16, v[1:2]
	v_cndmask_b32_e32 v16, v13, v17, vcc_lo
; %bb.357:
	s_and_not1_saveexec_b32 s0, s0
; %bb.358:
	s_delay_alu instid0(VALU_DEP_2)
	v_bfe_u32 v16, v1, 23, 1
; %bb.359:
	s_or_b32 exec_lo, exec_lo, s0
	s_delay_alu instid0(VALU_DEP_3) | instskip(NEXT) | instid1(VALU_DEP_2)
	v_lshrrev_b64 v[1:2], 20, v[1:2]
	v_cmp_gt_i32_e32 vcc_lo, 16, v16
	v_cmp_ne_u32_e64 s0, 0, v16
	s_delay_alu instid0(VALU_DEP_3) | instskip(NEXT) | instid1(VALU_DEP_1)
	v_dual_cndmask_b32 v14, 0, v2 :: v_dual_cndmask_b32 v13, 7, v1
                                        ; implicit-def: $vgpr1_vgpr2
	v_cmp_ne_u64_e32 vcc_lo, 0, v[13:14]
	s_delay_alu instid0(VALU_DEP_3) | instskip(NEXT) | instid1(SALU_CYCLE_1)
	s_or_b32 s0, s0, vcc_lo
	s_and_saveexec_b32 s1, s0
	s_delay_alu instid0(SALU_CYCLE_1)
	s_xor_b32 s0, exec_lo, s1
; %bb.360:
	v_min_i32_e32 v1, 15, v16
	s_delay_alu instid0(VALU_DEP_1) | instskip(NEXT) | instid1(VALU_DEP_1)
	v_lshl_or_b32 v1, v1, 3, v7
                                        ; implicit-def: $vgpr7
	v_and_or_b32 v1, v13, 7, v1
; %bb.361:
	s_and_not1_saveexec_b32 s0, s0
; %bb.362:
	v_dual_mov_b32 v1, v7 :: v_dual_mov_b32 v2, v8
; %bb.363:
	s_or_b32 exec_lo, exec_lo, s0
.LBB6_364:
	s_delay_alu instid0(SALU_CYCLE_1)
	s_or_b32 exec_lo, exec_lo, s5
.LBB6_365:
	s_and_not1_saveexec_b32 s0, s4
	s_delay_alu instid0(SALU_CYCLE_1)
	s_or_b32 exec_lo, exec_lo, s0
                                        ; implicit-def: $vgpr2
                                        ; implicit-def: $vgpr13_vgpr14
.LBB6_366:
	s_and_not1_saveexec_b32 s0, s3
; %bb.367:
	v_cmp_eq_u64_e32 vcc_lo, 0, v[13:14]
	v_or_b32_e32 v2, 0x7f, v2
	s_delay_alu instid0(VALU_DEP_1)
	v_cndmask_b32_e32 v1, v2, v1, vcc_lo
; %bb.368:
	s_or_b32 exec_lo, exec_lo, s0
	v_lshlrev_b32_e32 v2, 16, v3
	s_mov_b32 s0, 0x43e00000
	s_delay_alu instid0(VALU_DEP_1) | instskip(NEXT) | instid1(VALU_DEP_1)
	v_mul_f32_e32 v2, v21, v2
	v_minmax_f32 v7, v2, s0, 0xc3e00000
	v_mov_b32_e32 v16, 0
	s_mov_b32 s0, exec_lo
	s_delay_alu instid0(VALU_DEP_2) | instskip(SKIP_1) | instid1(VALU_DEP_3)
	v_and_b32_e32 v15, 0x7fffff, v7
	v_lshrrev_b32_e32 v14, 24, v7
	v_dual_mov_b32 v18, v16 :: v_dual_and_b32 v17, 0x7f800000, v7
	s_delay_alu instid0(VALU_DEP_2) | instskip(NEXT) | instid1(VALU_DEP_1)
	v_and_b32_e32 v2, 0x80, v14
	v_or_b32_e32 v13, 0x7e, v2
	s_delay_alu instid0(VALU_DEP_3)
	v_cmpx_ne_u64_e32 0x7f800000, v[17:18]
	s_xor_b32 s3, exec_lo, s0
	s_cbranch_execz .LBB6_382
; %bb.369:
	v_dual_mov_b32 v18, v16 :: v_dual_and_b32 v17, 0x7fffffff, v7
	s_mov_b32 s0, exec_lo
	s_delay_alu instid0(VALU_DEP_1)
	v_cmpx_gt_u64_e32 0x43e00001, v[17:18]
	s_xor_b32 s4, exec_lo, s0
	s_cbranch_execz .LBB6_381
; %bb.370:
	s_mov_b32 s5, exec_lo
	v_mov_b32_e32 v13, 0
	v_mov_b32_e32 v14, 0
	v_cmpx_ne_u32_e32 0, v7
	s_cbranch_execz .LBB6_380
; %bb.371:
	v_bfe_u32 v7, v7, 23, 8
	s_delay_alu instid0(VALU_DEP_1) | instskip(SKIP_2) | instid1(VALU_DEP_3)
	v_sub_nc_u32_e64 v13, 0x79, v7 clamp
	v_cmp_eq_u32_e32 vcc_lo, 0, v7
	v_add_nc_u32_e32 v7, 0xffffff88, v7
	v_cndmask_b32_e64 v18, v13, 0x78, vcc_lo
	v_or_b32_e32 v13, 0x800000, v15
	s_delay_alu instid0(VALU_DEP_3) | instskip(NEXT) | instid1(VALU_DEP_2)
	v_cndmask_b32_e64 v7, v7, 0xffffff89, vcc_lo
	v_dual_cndmask_b32 v15, v13, v15 :: v_dual_add_nc_u32 v14, 20, v18
	v_add_nc_u32_e32 v25, 19, v18
	s_delay_alu instid0(VALU_DEP_2) | instskip(NEXT) | instid1(VALU_DEP_3)
	v_lshlrev_b64 v[13:14], v14, -1
	v_lshrrev_b64 v[23:24], v18, v[15:16]
	v_mov_b32_e32 v17, 0
	s_delay_alu instid0(VALU_DEP_3) | instskip(NEXT) | instid1(VALU_DEP_3)
	v_not_b32_e32 v26, v14
	v_and_b32_e32 v16, 0x100000, v23
	v_not_b32_e32 v27, v13
	v_lshlrev_b64 v[13:14], v25, 1
	s_delay_alu instid0(VALU_DEP_4) | instskip(NEXT) | instid1(VALU_DEP_4)
	v_and_b32_e32 v26, 0, v26
	v_cmp_eq_u64_e64 s0, 0, v[16:17]
	s_delay_alu instid0(VALU_DEP_4) | instskip(NEXT) | instid1(VALU_DEP_1)
	v_and_b32_e32 v25, v15, v27
	v_cmp_eq_u64_e64 s1, v[25:26], v[13:14]
	v_lshrrev_b32_e32 v13, 23, v23
	s_delay_alu instid0(VALU_DEP_1) | instskip(NEXT) | instid1(VALU_DEP_3)
	v_add3_u32 v15, v7, v18, v13
	s_and_b32 vcc_lo, s0, s1
	s_mov_b32 s0, exec_lo
	v_subrev_co_ci_u32_e32 v14, vcc_lo, 0, v23, vcc_lo
	s_delay_alu instid0(VALU_DEP_2) | instskip(NEXT) | instid1(VALU_DEP_2)
	v_add_nc_u32_e32 v18, -1, v15
	v_and_b32_e32 v7, 0xfffff, v14
	s_delay_alu instid0(VALU_DEP_1) | instskip(SKIP_1) | instid1(VALU_DEP_4)
	v_add_co_u32 v13, vcc_lo, v7, v23
	v_add_co_ci_u32_e32 v14, vcc_lo, 0, v24, vcc_lo
                                        ; implicit-def: $vgpr7
	v_cmpx_ne_u32_e32 0, v18
	s_xor_b32 s0, exec_lo, s0
; %bb.372:
	s_delay_alu instid0(VALU_DEP_3) | instskip(SKIP_1) | instid1(VALU_DEP_2)
	v_and_b32_e32 v16, 0x1000000, v13
	v_bfe_u32 v7, v13, 24, 1
	v_cmp_eq_u64_e32 vcc_lo, 0, v[16:17]
	s_delay_alu instid0(VALU_DEP_2)
	v_lshrrev_b64 v[13:14], v7, v[13:14]
	v_cndmask_b32_e32 v7, v15, v18, vcc_lo
; %bb.373:
	s_and_not1_saveexec_b32 s0, s0
; %bb.374:
	s_delay_alu instid0(VALU_DEP_2)
	v_bfe_u32 v7, v13, 23, 1
; %bb.375:
	s_or_b32 exec_lo, exec_lo, s0
	s_delay_alu instid0(VALU_DEP_3) | instskip(NEXT) | instid1(VALU_DEP_2)
	v_lshrrev_b64 v[13:14], 20, v[13:14]
	v_cmp_gt_i32_e32 vcc_lo, 16, v7
	v_cmp_ne_u32_e64 s0, 0, v7
	s_delay_alu instid0(VALU_DEP_3) | instskip(NEXT) | instid1(VALU_DEP_1)
	v_dual_cndmask_b32 v16, 0, v14 :: v_dual_cndmask_b32 v15, 7, v13
                                        ; implicit-def: $vgpr13_vgpr14
	v_cmp_ne_u64_e32 vcc_lo, 0, v[15:16]
	s_delay_alu instid0(VALU_DEP_3) | instskip(NEXT) | instid1(SALU_CYCLE_1)
	s_or_b32 s0, s0, vcc_lo
	s_and_saveexec_b32 s1, s0
	s_delay_alu instid0(SALU_CYCLE_1)
	s_xor_b32 s0, exec_lo, s1
; %bb.376:
	v_min_i32_e32 v7, 15, v7
	s_delay_alu instid0(VALU_DEP_1) | instskip(NEXT) | instid1(VALU_DEP_1)
	v_lshl_or_b32 v2, v7, 3, v2
	v_and_or_b32 v13, v15, 7, v2
                                        ; implicit-def: $vgpr2
; %bb.377:
	s_and_not1_saveexec_b32 s0, s0
; %bb.378:
	v_dual_mov_b32 v14, v3 :: v_dual_mov_b32 v13, v2
; %bb.379:
	s_or_b32 exec_lo, exec_lo, s0
.LBB6_380:
	s_delay_alu instid0(SALU_CYCLE_1)
	s_or_b32 exec_lo, exec_lo, s5
.LBB6_381:
	s_and_not1_saveexec_b32 s0, s4
	s_delay_alu instid0(SALU_CYCLE_1)
	s_or_b32 exec_lo, exec_lo, s0
                                        ; implicit-def: $vgpr14
                                        ; implicit-def: $vgpr15_vgpr16
.LBB6_382:
	s_and_not1_saveexec_b32 s0, s3
; %bb.383:
	v_cmp_eq_u64_e32 vcc_lo, 0, v[15:16]
	v_or_b32_e32 v2, 0x7f, v14
	s_delay_alu instid0(VALU_DEP_1)
	v_cndmask_b32_e32 v13, v2, v13, vcc_lo
; %bb.384:
	s_or_b32 exec_lo, exec_lo, s0
	v_dual_mov_b32 v17, 0 :: v_dual_and_b32 v2, 0xffff0000, v3
	s_mov_b32 s0, 0x43e00000
	s_delay_alu instid0(VALU_DEP_1) | instskip(NEXT) | instid1(VALU_DEP_2)
	v_mul_f32_e32 v2, v21, v2
	v_mov_b32_e32 v15, v17
	s_delay_alu instid0(VALU_DEP_2) | instskip(NEXT) | instid1(VALU_DEP_1)
	v_minmax_f32 v3, v2, s0, 0xc3e00000
	v_lshrrev_b32_e32 v7, 24, v3
	v_and_b32_e32 v14, 0x7f800000, v3
	v_and_b32_e32 v16, 0x7fffff, v3
	s_delay_alu instid0(VALU_DEP_3) | instskip(NEXT) | instid1(VALU_DEP_3)
	v_and_b32_e32 v2, 0x80, v7
	v_cmp_ne_u64_e32 vcc_lo, 0x7f800000, v[14:15]
	s_delay_alu instid0(VALU_DEP_2) | instskip(SKIP_1) | instid1(SALU_CYCLE_1)
	v_or_b32_e32 v14, 0x7e, v2
	s_and_saveexec_b32 s0, vcc_lo
	s_xor_b32 s3, exec_lo, s0
	s_cbranch_execz .LBB6_398
; %bb.385:
	v_dual_mov_b32 v24, v17 :: v_dual_and_b32 v23, 0x7fffffff, v3
	s_mov_b32 s0, exec_lo
	s_delay_alu instid0(VALU_DEP_1)
	v_cmpx_gt_u64_e32 0x43e00001, v[23:24]
	s_xor_b32 s4, exec_lo, s0
	s_cbranch_execz .LBB6_397
; %bb.386:
	s_mov_b32 s5, exec_lo
	v_mov_b32_e32 v14, 0
	v_mov_b32_e32 v15, 0
	v_cmpx_ne_u32_e32 0, v3
	s_cbranch_execz .LBB6_396
; %bb.387:
	v_bfe_u32 v3, v3, 23, 8
	v_or_b32_e32 v14, 0x800000, v16
	v_mov_b32_e32 v18, 0
	s_delay_alu instid0(VALU_DEP_3) | instskip(SKIP_2) | instid1(VALU_DEP_3)
	v_sub_nc_u32_e64 v7, 0x79, v3 clamp
	v_cmp_eq_u32_e32 vcc_lo, 0, v3
	v_add_nc_u32_e32 v3, 0xffffff88, v3
	v_cndmask_b32_e64 v7, v7, 0x78, vcc_lo
	v_cndmask_b32_e32 v16, v14, v16, vcc_lo
	s_delay_alu instid0(VALU_DEP_3) | instskip(NEXT) | instid1(VALU_DEP_3)
	v_cndmask_b32_e64 v3, v3, 0xffffff89, vcc_lo
	v_add_nc_u32_e32 v15, 20, v7
	v_add_nc_u32_e32 v21, 19, v7
	s_delay_alu instid0(VALU_DEP_4) | instskip(NEXT) | instid1(VALU_DEP_3)
	v_lshrrev_b64 v[23:24], v7, v[16:17]
	v_lshlrev_b64 v[14:15], v15, -1
	s_delay_alu instid0(VALU_DEP_2) | instskip(NEXT) | instid1(VALU_DEP_2)
	v_and_b32_e32 v17, 0x100000, v23
	v_not_b32_e32 v25, v15
	s_delay_alu instid0(VALU_DEP_3) | instskip(SKIP_1) | instid1(VALU_DEP_4)
	v_not_b32_e32 v27, v14
	v_lshlrev_b64 v[14:15], v21, 1
	v_cmp_eq_u64_e64 s0, 0, v[17:18]
	s_delay_alu instid0(VALU_DEP_4) | instskip(NEXT) | instid1(VALU_DEP_4)
	v_and_b32_e32 v26, 0, v25
	v_and_b32_e32 v25, v16, v27
	s_delay_alu instid0(VALU_DEP_1) | instskip(SKIP_1) | instid1(VALU_DEP_1)
	v_cmp_eq_u64_e64 s1, v[25:26], v[14:15]
	v_lshrrev_b32_e32 v14, 23, v23
	v_add3_u32 v7, v3, v7, v14
	s_delay_alu instid0(VALU_DEP_3) | instskip(SKIP_2) | instid1(VALU_DEP_2)
	s_and_b32 vcc_lo, s0, s1
	s_mov_b32 s0, exec_lo
	v_subrev_co_ci_u32_e32 v15, vcc_lo, 0, v23, vcc_lo
	v_add_nc_u32_e32 v16, -1, v7
	s_delay_alu instid0(VALU_DEP_2) | instskip(NEXT) | instid1(VALU_DEP_1)
	v_and_b32_e32 v3, 0xfffff, v15
	v_add_co_u32 v14, vcc_lo, v3, v23
	v_add_co_ci_u32_e32 v15, vcc_lo, 0, v24, vcc_lo
                                        ; implicit-def: $vgpr3
	s_delay_alu instid0(VALU_DEP_4)
	v_cmpx_ne_u32_e32 0, v16
	s_xor_b32 s0, exec_lo, s0
; %bb.388:
	s_delay_alu instid0(VALU_DEP_3) | instskip(SKIP_1) | instid1(VALU_DEP_2)
	v_and_b32_e32 v17, 0x1000000, v14
	v_bfe_u32 v3, v14, 24, 1
	v_cmp_eq_u64_e32 vcc_lo, 0, v[17:18]
	s_delay_alu instid0(VALU_DEP_2)
	v_lshrrev_b64 v[14:15], v3, v[14:15]
	v_cndmask_b32_e32 v3, v7, v16, vcc_lo
; %bb.389:
	s_and_not1_saveexec_b32 s0, s0
; %bb.390:
	s_delay_alu instid0(VALU_DEP_2)
	v_bfe_u32 v3, v14, 23, 1
; %bb.391:
	s_or_b32 exec_lo, exec_lo, s0
	s_delay_alu instid0(VALU_DEP_3) | instskip(NEXT) | instid1(VALU_DEP_2)
	v_lshrrev_b64 v[14:15], 20, v[14:15]
	v_cmp_gt_i32_e32 vcc_lo, 16, v3
	v_cmp_ne_u32_e64 s0, 0, v3
	s_delay_alu instid0(VALU_DEP_3) | instskip(NEXT) | instid1(VALU_DEP_1)
	v_dual_cndmask_b32 v17, 0, v15 :: v_dual_cndmask_b32 v16, 7, v14
                                        ; implicit-def: $vgpr14_vgpr15
	v_cmp_ne_u64_e32 vcc_lo, 0, v[16:17]
	s_delay_alu instid0(VALU_DEP_3) | instskip(NEXT) | instid1(SALU_CYCLE_1)
	s_or_b32 s0, s0, vcc_lo
	s_and_saveexec_b32 s1, s0
	s_delay_alu instid0(SALU_CYCLE_1)
	s_xor_b32 s0, exec_lo, s1
; %bb.392:
	v_min_i32_e32 v3, 15, v3
	s_delay_alu instid0(VALU_DEP_1) | instskip(NEXT) | instid1(VALU_DEP_1)
	v_lshl_or_b32 v2, v3, 3, v2
	v_and_or_b32 v14, v16, 7, v2
                                        ; implicit-def: $vgpr2
; %bb.393:
	s_and_not1_saveexec_b32 s0, s0
; %bb.394:
	v_dual_mov_b32 v15, v3 :: v_dual_mov_b32 v14, v2
; %bb.395:
	s_or_b32 exec_lo, exec_lo, s0
.LBB6_396:
	s_delay_alu instid0(SALU_CYCLE_1)
	s_or_b32 exec_lo, exec_lo, s5
.LBB6_397:
	s_and_not1_saveexec_b32 s0, s4
	s_delay_alu instid0(SALU_CYCLE_1)
	s_or_b32 exec_lo, exec_lo, s0
                                        ; implicit-def: $vgpr7
                                        ; implicit-def: $vgpr16_vgpr17
.LBB6_398:
	s_and_not1_saveexec_b32 s0, s3
; %bb.399:
	v_cmp_eq_u64_e32 vcc_lo, 0, v[16:17]
	v_or_b32_e32 v2, 0x7f, v7
	s_delay_alu instid0(VALU_DEP_1)
	v_cndmask_b32_e32 v14, v2, v14, vcc_lo
; %bb.400:
	s_or_b32 exec_lo, exec_lo, s0
	v_lshlrev_b32_e32 v7, 16, v13
	v_lshlrev_b32_e32 v6, 16, v6
	v_lshlrev_b64 v[2:3], 3, v[8:9]
	v_lshlrev_b32_e32 v9, 24, v14
	v_lshlrev_b32_e32 v1, 8, v1
	v_and_b32_e32 v7, 0xff0000, v7
	v_lshlrev_b32_e32 v5, 8, v5
	v_perm_b32 v0, v0, v6, 0x4020c0c
	v_and_b32_e32 v6, 0xff, v12
	v_and_b32_e32 v12, 0xff00, v1
	v_or_b32_e32 v7, v9, v7
	v_and_b32_e32 v4, 0xff, v4
	v_and_or_b32 v5, 0xff00, v5, v0
	v_add_co_u32 v0, vcc_lo, v19, v2
	v_add_co_ci_u32_e32 v1, vcc_lo, v20, v3, vcc_lo
	v_or3_b32 v3, v7, v12, v6
	s_delay_alu instid0(VALU_DEP_4)
	v_or_b32_e32 v2, v5, v4
	global_store_b64 v[0:1], v[2:3], off
.LBB6_401:
	s_or_b32 exec_lo, exec_lo, s2
	v_cmp_eq_u32_e32 vcc_lo, 0, v8
	s_cmp_lg_u64 s[6:7], 0
	s_cselect_b32 s0, -1, 0
	s_delay_alu instid0(SALU_CYCLE_1) | instskip(NEXT) | instid1(SALU_CYCLE_1)
	s_and_b32 s0, s0, vcc_lo
	s_and_saveexec_b32 s1, s0
	s_cbranch_execz .LBB6_403
; %bb.402:
	v_add_co_u32 v0, vcc_lo, s6, v10
	v_add_co_ci_u32_e32 v1, vcc_lo, s7, v11, vcc_lo
	global_store_b32 v[0:1], v22, off
.LBB6_403:
	s_nop 0
	s_sendmsg sendmsg(MSG_DEALLOC_VGPRS)
	s_endpgm
	.section	.rodata,"a",@progbits
	.p2align	6, 0x0
	.amdhsa_kernel _ZN4vllm24merge_attn_states_kernelI14__hip_bfloat16N3c1013Float8_e4m3fnELj128ELb1EEEvPT0_PfPKT_PKfS9_SB_jjjjjjSB_
		.amdhsa_group_segment_fixed_size 0
		.amdhsa_private_segment_fixed_size 0
		.amdhsa_kernarg_size 80
		.amdhsa_user_sgpr_count 15
		.amdhsa_user_sgpr_dispatch_ptr 0
		.amdhsa_user_sgpr_queue_ptr 0
		.amdhsa_user_sgpr_kernarg_segment_ptr 1
		.amdhsa_user_sgpr_dispatch_id 0
		.amdhsa_user_sgpr_private_segment_size 0
		.amdhsa_wavefront_size32 1
		.amdhsa_uses_dynamic_stack 0
		.amdhsa_enable_private_segment 0
		.amdhsa_system_sgpr_workgroup_id_x 1
		.amdhsa_system_sgpr_workgroup_id_y 0
		.amdhsa_system_sgpr_workgroup_id_z 0
		.amdhsa_system_sgpr_workgroup_info 0
		.amdhsa_system_vgpr_workitem_id 0
		.amdhsa_next_free_vgpr 32
		.amdhsa_next_free_sgpr 24
		.amdhsa_reserve_vcc 1
		.amdhsa_float_round_mode_32 0
		.amdhsa_float_round_mode_16_64 0
		.amdhsa_float_denorm_mode_32 3
		.amdhsa_float_denorm_mode_16_64 3
		.amdhsa_dx10_clamp 1
		.amdhsa_ieee_mode 1
		.amdhsa_fp16_overflow 0
		.amdhsa_workgroup_processor_mode 1
		.amdhsa_memory_ordered 1
		.amdhsa_forward_progress 0
		.amdhsa_shared_vgpr_count 0
		.amdhsa_exception_fp_ieee_invalid_op 0
		.amdhsa_exception_fp_denorm_src 0
		.amdhsa_exception_fp_ieee_div_zero 0
		.amdhsa_exception_fp_ieee_overflow 0
		.amdhsa_exception_fp_ieee_underflow 0
		.amdhsa_exception_fp_ieee_inexact 0
		.amdhsa_exception_int_div_zero 0
	.end_amdhsa_kernel
	.section	.text._ZN4vllm24merge_attn_states_kernelI14__hip_bfloat16N3c1013Float8_e4m3fnELj128ELb1EEEvPT0_PfPKT_PKfS9_SB_jjjjjjSB_,"axG",@progbits,_ZN4vllm24merge_attn_states_kernelI14__hip_bfloat16N3c1013Float8_e4m3fnELj128ELb1EEEvPT0_PfPKT_PKfS9_SB_jjjjjjSB_,comdat
.Lfunc_end6:
	.size	_ZN4vllm24merge_attn_states_kernelI14__hip_bfloat16N3c1013Float8_e4m3fnELj128ELb1EEEvPT0_PfPKT_PKfS9_SB_jjjjjjSB_, .Lfunc_end6-_ZN4vllm24merge_attn_states_kernelI14__hip_bfloat16N3c1013Float8_e4m3fnELj128ELb1EEEvPT0_PfPKT_PKfS9_SB_jjjjjjSB_
                                        ; -- End function
	.section	.AMDGPU.csdata,"",@progbits
; Kernel info:
; codeLenInByte = 16864
; NumSgprs: 26
; NumVgprs: 32
; ScratchSize: 0
; MemoryBound: 0
; FloatMode: 240
; IeeeMode: 1
; LDSByteSize: 0 bytes/workgroup (compile time only)
; SGPRBlocks: 3
; VGPRBlocks: 3
; NumSGPRsForWavesPerEU: 26
; NumVGPRsForWavesPerEU: 32
; Occupancy: 16
; WaveLimiterHint : 0
; COMPUTE_PGM_RSRC2:SCRATCH_EN: 0
; COMPUTE_PGM_RSRC2:USER_SGPR: 15
; COMPUTE_PGM_RSRC2:TRAP_HANDLER: 0
; COMPUTE_PGM_RSRC2:TGID_X_EN: 1
; COMPUTE_PGM_RSRC2:TGID_Y_EN: 0
; COMPUTE_PGM_RSRC2:TGID_Z_EN: 0
; COMPUTE_PGM_RSRC2:TIDIG_COMP_CNT: 0
	.section	.text._ZN4vllm24merge_attn_states_kernelI14__hip_bfloat16N3c1015Float8_e4m3fnuzELj128ELb1EEEvPT0_PfPKT_PKfS9_SB_jjjjjjSB_,"axG",@progbits,_ZN4vllm24merge_attn_states_kernelI14__hip_bfloat16N3c1015Float8_e4m3fnuzELj128ELb1EEEvPT0_PfPKT_PKfS9_SB_jjjjjjSB_,comdat
	.protected	_ZN4vllm24merge_attn_states_kernelI14__hip_bfloat16N3c1015Float8_e4m3fnuzELj128ELb1EEEvPT0_PfPKT_PKfS9_SB_jjjjjjSB_ ; -- Begin function _ZN4vllm24merge_attn_states_kernelI14__hip_bfloat16N3c1015Float8_e4m3fnuzELj128ELb1EEEvPT0_PfPKT_PKfS9_SB_jjjjjjSB_
	.globl	_ZN4vllm24merge_attn_states_kernelI14__hip_bfloat16N3c1015Float8_e4m3fnuzELj128ELb1EEEvPT0_PfPKT_PKfS9_SB_jjjjjjSB_
	.p2align	8
	.type	_ZN4vllm24merge_attn_states_kernelI14__hip_bfloat16N3c1015Float8_e4m3fnuzELj128ELb1EEEvPT0_PfPKT_PKfS9_SB_jjjjjjSB_,@function
_ZN4vllm24merge_attn_states_kernelI14__hip_bfloat16N3c1015Float8_e4m3fnuzELj128ELb1EEEvPT0_PfPKT_PKfS9_SB_jjjjjjSB_: ; @_ZN4vllm24merge_attn_states_kernelI14__hip_bfloat16N3c1015Float8_e4m3fnuzELj128ELb1EEEvPT0_PfPKT_PKfS9_SB_jjjjjjSB_
; %bb.0:
	s_load_b128 s[16:19], s[0:1], 0x30
	v_lshl_add_u32 v0, s15, 7, v0
	s_waitcnt lgkmcnt(0)
	s_lshr_b32 s2, s18, 3
	s_mul_i32 s3, s17, s16
	s_delay_alu instid0(SALU_CYCLE_1) | instskip(NEXT) | instid1(SALU_CYCLE_1)
	s_mul_i32 s3, s3, s2
	v_cmp_gt_u32_e32 vcc_lo, s3, v0
	s_and_saveexec_b32 s3, vcc_lo
	s_cbranch_execz .LBB7_259
; %bb.1:
	v_cvt_f32_u32_e32 v1, s2
	v_cvt_f32_u32_e32 v3, s17
	s_sub_i32 s3, 0, s2
	s_clause 0x1
	s_load_b128 s[20:23], s[0:1], 0x40
	s_load_b128 s[12:15], s[0:1], 0x20
	v_rcp_iflag_f32_e32 v1, v1
	v_rcp_iflag_f32_e32 v3, v3
	s_sub_i32 s4, 0, s17
	s_waitcnt_depctr 0xfff
	v_mul_f32_e32 v1, 0x4f7ffffe, v1
	s_delay_alu instid0(VALU_DEP_1) | instskip(NEXT) | instid1(VALU_DEP_1)
	v_cvt_u32_f32_e32 v1, v1
	v_mul_lo_u32 v2, s3, v1
	s_waitcnt lgkmcnt(0)
	s_load_b32 s3, s[22:23], 0x0
	s_delay_alu instid0(VALU_DEP_1) | instskip(NEXT) | instid1(VALU_DEP_1)
	v_mul_hi_u32 v2, v1, v2
	v_dual_mul_f32 v2, 0x4f7ffffe, v3 :: v_dual_add_nc_u32 v1, v1, v2
	s_waitcnt lgkmcnt(0)
	v_div_scale_f32 v6, null, s3, s3, 1.0
	s_delay_alu instid0(VALU_DEP_2) | instskip(NEXT) | instid1(VALU_DEP_3)
	v_mul_hi_u32 v1, v0, v1
	v_cvt_u32_f32_e32 v2, v2
	s_delay_alu instid0(VALU_DEP_1) | instskip(SKIP_1) | instid1(VALU_DEP_3)
	v_mul_lo_u32 v4, s4, v2
	s_load_b256 s[4:11], s[0:1], 0x0
	v_mul_lo_u32 v3, v1, s2
	v_add_nc_u32_e32 v5, 1, v1
	s_delay_alu instid0(VALU_DEP_3) | instskip(NEXT) | instid1(VALU_DEP_3)
	v_mul_hi_u32 v4, v2, v4
	v_sub_nc_u32_e32 v3, v0, v3
	s_delay_alu instid0(VALU_DEP_1) | instskip(SKIP_1) | instid1(VALU_DEP_4)
	v_subrev_nc_u32_e32 v7, s2, v3
	v_cmp_le_u32_e32 vcc_lo, s2, v3
	v_dual_cndmask_b32 v1, v1, v5 :: v_dual_add_nc_u32 v2, v2, v4
	s_delay_alu instid0(VALU_DEP_3) | instskip(SKIP_1) | instid1(VALU_DEP_2)
	v_cndmask_b32_e32 v3, v3, v7, vcc_lo
	v_rcp_f32_e32 v5, v6
	v_add_nc_u32_e32 v7, 1, v1
	s_delay_alu instid0(VALU_DEP_2) | instskip(NEXT) | instid1(VALU_DEP_2)
	v_cmp_le_u32_e32 vcc_lo, s2, v3
	v_cndmask_b32_e32 v7, v1, v7, vcc_lo
	s_waitcnt_depctr 0xfff
	v_fma_f32 v1, -v6, v5, 1.0
	v_div_scale_f32 v3, vcc_lo, 1.0, s3, 1.0
	v_mul_hi_u32 v2, v7, v2
	s_delay_alu instid0(VALU_DEP_3) | instskip(NEXT) | instid1(VALU_DEP_1)
	v_fmac_f32_e32 v5, v1, v5
	v_mul_f32_e32 v8, v3, v5
	s_delay_alu instid0(VALU_DEP_3) | instskip(SKIP_1) | instid1(VALU_DEP_3)
	v_mul_lo_u32 v1, v2, s17
	v_add_nc_u32_e32 v9, 1, v2
	v_fma_f32 v4, -v6, v8, v3
	s_delay_alu instid0(VALU_DEP_3) | instskip(NEXT) | instid1(VALU_DEP_2)
	v_sub_nc_u32_e32 v1, v7, v1
	v_fmac_f32_e32 v8, v4, v5
	s_delay_alu instid0(VALU_DEP_2) | instskip(SKIP_1) | instid1(VALU_DEP_3)
	v_subrev_nc_u32_e32 v4, s17, v1
	v_cmp_le_u32_e64 s0, s17, v1
	v_fma_f32 v3, -v6, v8, v3
	s_delay_alu instid0(VALU_DEP_2) | instskip(NEXT) | instid1(VALU_DEP_4)
	v_cndmask_b32_e64 v9, v2, v9, s0
	v_cndmask_b32_e64 v4, v1, v4, s0
	v_mov_b32_e32 v2, 0
	s_delay_alu instid0(VALU_DEP_4) | instskip(NEXT) | instid1(VALU_DEP_4)
	v_div_fmas_f32 v3, v3, v5, v8
	v_add_nc_u32_e32 v6, 1, v9
	s_delay_alu instid0(VALU_DEP_4)
	v_cmp_le_u32_e64 s0, s17, v4
	v_mul_lo_u32 v10, v7, s2
	v_mul_lo_u32 v1, v7, s19
	;; [unrolled: 1-line block ×3, first 2 shown]
	v_div_fixup_f32 v20, v3, s3, 1.0
	v_cndmask_b32_e64 v4, v9, v6, s0
	v_sub_nc_u32_e32 v8, v0, v10
	v_lshlrev_b64 v[0:1], 1, v[1:2]
	s_delay_alu instid0(VALU_DEP_3) | instskip(SKIP_2) | instid1(VALU_DEP_1)
	v_mul_lo_u32 v6, v4, s17
	s_waitcnt lgkmcnt(0)
	v_add_co_u32 v18, s0, s4, v11
	v_add_co_ci_u32_e64 v19, null, s5, 0, s0
	s_delay_alu instid0(VALU_DEP_4)
	v_add_co_u32 v2, vcc_lo, s12, v0
	v_lshlrev_b32_e32 v5, 3, v8
	v_add_co_ci_u32_e32 v3, vcc_lo, s13, v1, vcc_lo
	v_sub_nc_u32_e32 v16, v7, v6
	s_mov_b32 s0, exec_lo
	v_cmpx_le_u32_e64 s21, v4
	s_xor_b32 s2, exec_lo, s0
	s_cbranch_execz .LBB7_87
; %bb.2:
	s_mov_b32 s3, exec_lo
	v_cmpx_gt_u32_e64 s18, v5
	s_cbranch_execz .LBB7_84
; %bb.3:
	v_mov_b32_e32 v9, 0
	s_mov_b32 s0, 0x43600000
	s_delay_alu instid0(VALU_DEP_1) | instskip(SKIP_1) | instid1(VALU_DEP_2)
	v_lshlrev_b64 v[0:1], 4, v[8:9]
	v_mov_b32_e32 v6, v9
	v_add_co_u32 v0, vcc_lo, v2, v0
	s_delay_alu instid0(VALU_DEP_3) | instskip(SKIP_3) | instid1(VALU_DEP_1)
	v_add_co_ci_u32_e32 v1, vcc_lo, v3, v1, vcc_lo
	global_load_b128 v[0:3], v[0:1], off
	s_waitcnt vmcnt(0)
	v_lshlrev_b32_e32 v5, 16, v0
	v_mul_f32_e32 v5, v20, v5
	s_delay_alu instid0(VALU_DEP_1) | instskip(NEXT) | instid1(VALU_DEP_1)
	v_minmax_f32 v10, v5, s0, 0xc3600000
	v_and_b32_e32 v5, 0x7f800000, v10
	v_lshrrev_b32_e32 v7, 24, v10
	s_delay_alu instid0(VALU_DEP_2) | instskip(NEXT) | instid1(VALU_DEP_2)
	v_cmp_ne_u64_e32 vcc_lo, 0x7f800000, v[5:6]
	v_or_b32_e32 v5, 0x7f, v7
	s_and_saveexec_b32 s0, vcc_lo
	s_delay_alu instid0(SALU_CYCLE_1)
	s_xor_b32 s4, exec_lo, s0
	s_cbranch_execz .LBB7_13
; %bb.4:
	v_dual_mov_b32 v12, v9 :: v_dual_and_b32 v11, 0x7fffffff, v10
	s_mov_b32 s0, exec_lo
	s_delay_alu instid0(VALU_DEP_1)
	v_cmpx_gt_u64_e32 0x43700001, v[11:12]
	s_xor_b32 s5, exec_lo, s0
	s_cbranch_execz .LBB7_12
; %bb.5:
	s_mov_b32 s12, exec_lo
	v_mov_b32_e32 v5, 0
	v_mov_b32_e32 v6, 0
	v_cmpx_ne_u32_e32 0, v10
	s_cbranch_execz .LBB7_11
; %bb.6:
	v_bfe_u32 v17, v10, 23, 8
	v_mov_b32_e32 v6, 0
	v_and_b32_e32 v10, 0x7fffff, v10
	s_delay_alu instid0(VALU_DEP_3) | instskip(SKIP_2) | instid1(VALU_DEP_3)
	v_sub_nc_u32_e64 v5, 0x78, v17 clamp
	v_cmp_eq_u32_e32 vcc_lo, 0, v17
	v_add_nc_u32_e32 v17, 0xffffff89, v17
	v_cndmask_b32_e64 v21, v5, 0x77, vcc_lo
	v_or_b32_e32 v5, 0x800000, v10
	s_delay_alu instid0(VALU_DEP_2) | instskip(NEXT) | instid1(VALU_DEP_2)
	v_add_nc_u32_e32 v11, 20, v21
	v_dual_cndmask_b32 v5, v5, v10 :: v_dual_add_nc_u32 v12, 19, v21
	s_delay_alu instid0(VALU_DEP_2) | instskip(SKIP_1) | instid1(VALU_DEP_3)
	v_lshlrev_b64 v[10:11], v11, -1
	v_mov_b32_e32 v11, v6
	v_lshrrev_b64 v[14:15], v21, v[5:6]
	s_delay_alu instid0(VALU_DEP_4) | instskip(NEXT) | instid1(VALU_DEP_4)
	v_lshlrev_b64 v[12:13], v12, 1
	v_not_b32_e32 v10, v10
	s_delay_alu instid0(VALU_DEP_1) | instskip(NEXT) | instid1(VALU_DEP_4)
	v_and_b32_e32 v10, v5, v10
	v_and_b32_e32 v5, 0x100000, v14
	s_delay_alu instid0(VALU_DEP_2) | instskip(NEXT) | instid1(VALU_DEP_2)
	v_cmp_eq_u64_e64 s0, v[10:11], v[12:13]
	v_cmp_eq_u64_e64 s1, 0, v[5:6]
	v_cndmask_b32_e64 v5, v17, 0xffffff8a, vcc_lo
	v_lshrrev_b32_e32 v10, 23, v14
	s_delay_alu instid0(VALU_DEP_3) | instskip(NEXT) | instid1(VALU_DEP_1)
	s_and_b32 vcc_lo, s1, s0
	v_add3_u32 v12, v5, v21, v10
	s_mov_b32 s0, exec_lo
	v_subrev_co_ci_u32_e32 v11, vcc_lo, 0, v14, vcc_lo
	s_delay_alu instid0(VALU_DEP_2) | instskip(NEXT) | instid1(VALU_DEP_2)
	v_add_nc_u32_e32 v13, -1, v12
	v_and_b32_e32 v5, 0xfffff, v11
	s_delay_alu instid0(VALU_DEP_1) | instskip(SKIP_1) | instid1(VALU_DEP_4)
	v_add_co_u32 v10, vcc_lo, v5, v14
                                        ; implicit-def: $vgpr5
	v_add_co_ci_u32_e32 v11, vcc_lo, 0, v15, vcc_lo
	v_cmpx_ne_u32_e32 0, v13
	s_xor_b32 s0, exec_lo, s0
; %bb.7:
	s_delay_alu instid0(VALU_DEP_3) | instskip(SKIP_1) | instid1(VALU_DEP_2)
	v_and_b32_e32 v5, 0x1000000, v10
	v_bfe_u32 v14, v10, 24, 1
	v_cmp_eq_u64_e32 vcc_lo, 0, v[5:6]
	s_delay_alu instid0(VALU_DEP_2)
	v_lshrrev_b64 v[10:11], v14, v[10:11]
	v_cndmask_b32_e32 v5, v12, v13, vcc_lo
; %bb.8:
	s_and_not1_saveexec_b32 s0, s0
; %bb.9:
	s_delay_alu instid0(VALU_DEP_2)
	v_bfe_u32 v5, v10, 23, 1
; %bb.10:
	s_or_b32 exec_lo, exec_lo, s0
	s_delay_alu instid0(VALU_DEP_3) | instskip(NEXT) | instid1(VALU_DEP_2)
	v_lshrrev_b64 v[10:11], 20, v[10:11]
	v_cmp_gt_i32_e32 vcc_lo, 16, v5
	v_and_b32_e32 v12, 0x80, v7
	v_min_i32_e32 v13, 15, v5
	v_cmp_eq_u32_e64 s0, 0, v5
	v_dual_cndmask_b32 v7, 0, v11 :: v_dual_cndmask_b32 v6, 7, v10
	s_delay_alu instid0(VALU_DEP_3) | instskip(NEXT) | instid1(VALU_DEP_2)
	v_lshl_or_b32 v10, v13, 3, v12
	v_cmp_eq_u64_e32 vcc_lo, 0, v[6:7]
	s_delay_alu instid0(VALU_DEP_2)
	v_and_or_b32 v5, v6, 7, v10
	s_and_b32 s0, s0, vcc_lo
	s_delay_alu instid0(VALU_DEP_1) | instid1(SALU_CYCLE_1)
	v_cndmask_b32_e64 v5, v5, 0, s0
.LBB7_11:
	s_or_b32 exec_lo, exec_lo, s12
.LBB7_12:
	s_and_not1_saveexec_b32 s0, s5
	s_delay_alu instid0(SALU_CYCLE_1)
	s_or_b32 exec_lo, exec_lo, s0
.LBB7_13:
	s_and_not1_saveexec_b32 s0, s4
	s_delay_alu instid0(SALU_CYCLE_1) | instskip(SKIP_2) | instid1(VALU_DEP_1)
	s_or_b32 exec_lo, exec_lo, s0
	v_dual_mov_b32 v11, 0 :: v_dual_and_b32 v0, 0xffff0000, v0
	s_mov_b32 s0, 0x43600000
	v_mul_f32_e32 v0, v20, v0
	s_delay_alu instid0(VALU_DEP_1) | instskip(SKIP_1) | instid1(VALU_DEP_1)
	v_minmax_f32 v12, v0, s0, 0xc3600000
	s_mov_b32 s0, exec_lo
	v_lshrrev_b32_e32 v0, 24, v12
	v_and_b32_e32 v10, 0x7f800000, v12
	s_delay_alu instid0(VALU_DEP_2) | instskip(NEXT) | instid1(VALU_DEP_2)
	v_or_b32_e32 v6, 0x7f, v0
	v_cmpx_ne_u64_e32 0x7f800000, v[10:11]
	s_xor_b32 s4, exec_lo, s0
	s_cbranch_execz .LBB7_23
; %bb.14:
	v_and_b32_e32 v10, 0x7fffffff, v12
	s_mov_b32 s0, exec_lo
	s_delay_alu instid0(VALU_DEP_1)
	v_cmpx_gt_u64_e32 0x43700001, v[10:11]
	s_xor_b32 s5, exec_lo, s0
	s_cbranch_execz .LBB7_22
; %bb.15:
	s_mov_b32 s12, exec_lo
	v_mov_b32_e32 v6, 0
	v_mov_b32_e32 v7, 0
	v_cmpx_ne_u32_e32 0, v12
	s_cbranch_execz .LBB7_21
; %bb.16:
	v_bfe_u32 v17, v12, 23, 8
	v_dual_mov_b32 v7, 0 :: v_dual_and_b32 v10, 0x7fffff, v12
	s_delay_alu instid0(VALU_DEP_2) | instskip(SKIP_2) | instid1(VALU_DEP_3)
	v_sub_nc_u32_e64 v6, 0x78, v17 clamp
	v_cmp_eq_u32_e32 vcc_lo, 0, v17
	v_add_nc_u32_e32 v17, 0xffffff89, v17
	v_cndmask_b32_e64 v21, v6, 0x77, vcc_lo
	v_or_b32_e32 v6, 0x800000, v10
	s_delay_alu instid0(VALU_DEP_1) | instskip(SKIP_1) | instid1(VALU_DEP_2)
	v_dual_cndmask_b32 v6, v6, v10 :: v_dual_add_nc_u32 v11, 20, v21
	v_add_nc_u32_e32 v12, 19, v21
	v_lshlrev_b64 v[10:11], v11, -1
	v_mov_b32_e32 v11, v7
	s_delay_alu instid0(VALU_DEP_4) | instskip(NEXT) | instid1(VALU_DEP_4)
	v_lshrrev_b64 v[14:15], v21, v[6:7]
	v_lshlrev_b64 v[12:13], v12, 1
	s_delay_alu instid0(VALU_DEP_4) | instskip(NEXT) | instid1(VALU_DEP_1)
	v_not_b32_e32 v10, v10
	v_and_b32_e32 v10, v6, v10
	s_delay_alu instid0(VALU_DEP_4) | instskip(NEXT) | instid1(VALU_DEP_2)
	v_and_b32_e32 v6, 0x100000, v14
	v_cmp_eq_u64_e64 s0, v[10:11], v[12:13]
	s_delay_alu instid0(VALU_DEP_2) | instskip(SKIP_2) | instid1(VALU_DEP_3)
	v_cmp_eq_u64_e64 s1, 0, v[6:7]
	v_cndmask_b32_e64 v6, v17, 0xffffff8a, vcc_lo
	v_lshrrev_b32_e32 v10, 23, v14
	s_and_b32 vcc_lo, s1, s0
	s_delay_alu instid0(VALU_DEP_1) | instskip(SKIP_2) | instid1(VALU_DEP_2)
	v_add3_u32 v12, v6, v21, v10
	v_subrev_co_ci_u32_e32 v11, vcc_lo, 0, v14, vcc_lo
	s_mov_b32 s0, exec_lo
	v_add_nc_u32_e32 v13, -1, v12
	s_delay_alu instid0(VALU_DEP_2) | instskip(NEXT) | instid1(VALU_DEP_1)
	v_and_b32_e32 v6, 0xfffff, v11
	v_add_co_u32 v10, vcc_lo, v6, v14
	v_add_co_ci_u32_e32 v11, vcc_lo, 0, v15, vcc_lo
                                        ; implicit-def: $vgpr6
	s_delay_alu instid0(VALU_DEP_4)
	v_cmpx_ne_u32_e32 0, v13
	s_xor_b32 s0, exec_lo, s0
; %bb.17:
	s_delay_alu instid0(VALU_DEP_3) | instskip(SKIP_1) | instid1(VALU_DEP_2)
	v_and_b32_e32 v6, 0x1000000, v10
	v_bfe_u32 v14, v10, 24, 1
	v_cmp_eq_u64_e32 vcc_lo, 0, v[6:7]
	s_delay_alu instid0(VALU_DEP_2)
	v_lshrrev_b64 v[10:11], v14, v[10:11]
	v_cndmask_b32_e32 v6, v12, v13, vcc_lo
; %bb.18:
	s_and_not1_saveexec_b32 s0, s0
; %bb.19:
	s_delay_alu instid0(VALU_DEP_2)
	v_bfe_u32 v6, v10, 23, 1
; %bb.20:
	s_or_b32 exec_lo, exec_lo, s0
	s_delay_alu instid0(VALU_DEP_3) | instskip(NEXT) | instid1(VALU_DEP_2)
	v_lshrrev_b64 v[10:11], 20, v[10:11]
	v_cmp_gt_i32_e32 vcc_lo, 16, v6
	v_and_b32_e32 v0, 0x80, v0
	v_min_i32_e32 v7, 15, v6
	v_cmp_eq_u32_e64 s0, 0, v6
	v_dual_cndmask_b32 v11, 0, v11 :: v_dual_cndmask_b32 v10, 7, v10
	s_delay_alu instid0(VALU_DEP_3) | instskip(NEXT) | instid1(VALU_DEP_2)
	v_lshl_or_b32 v0, v7, 3, v0
	v_cmp_eq_u64_e32 vcc_lo, 0, v[10:11]
	s_delay_alu instid0(VALU_DEP_2)
	v_and_or_b32 v0, v10, 7, v0
	s_and_b32 s0, s0, vcc_lo
	s_delay_alu instid0(VALU_DEP_1) | instid1(SALU_CYCLE_1)
	v_cndmask_b32_e64 v6, v0, 0, s0
.LBB7_21:
	s_or_b32 exec_lo, exec_lo, s12
.LBB7_22:
	s_and_not1_saveexec_b32 s0, s5
	s_delay_alu instid0(SALU_CYCLE_1)
	s_or_b32 exec_lo, exec_lo, s0
.LBB7_23:
	s_and_not1_saveexec_b32 s0, s4
	s_delay_alu instid0(SALU_CYCLE_1) | instskip(SKIP_3) | instid1(VALU_DEP_2)
	s_or_b32 exec_lo, exec_lo, s0
	v_lshlrev_b32_e32 v0, 16, v1
	s_mov_b32 s0, 0x43600000
	v_mov_b32_e32 v12, 0
	v_mul_f32_e32 v0, v20, v0
	s_delay_alu instid0(VALU_DEP_1) | instskip(SKIP_1) | instid1(VALU_DEP_1)
	v_minmax_f32 v7, v0, s0, 0xc3600000
	s_mov_b32 s0, exec_lo
	v_and_b32_e32 v11, 0x7f800000, v7
	v_lshrrev_b32_e32 v0, 24, v7
	s_delay_alu instid0(VALU_DEP_1) | instskip(NEXT) | instid1(VALU_DEP_3)
	v_or_b32_e32 v10, 0x7f, v0
	v_cmpx_ne_u64_e32 0x7f800000, v[11:12]
	s_xor_b32 s4, exec_lo, s0
	s_cbranch_execz .LBB7_33
; %bb.24:
	v_and_b32_e32 v11, 0x7fffffff, v7
	s_mov_b32 s0, exec_lo
	s_delay_alu instid0(VALU_DEP_1)
	v_cmpx_gt_u64_e32 0x43700001, v[11:12]
	s_xor_b32 s5, exec_lo, s0
	s_cbranch_execz .LBB7_32
; %bb.25:
	s_mov_b32 s12, exec_lo
	v_mov_b32_e32 v10, 0
	v_mov_b32_e32 v11, 0
	v_cmpx_ne_u32_e32 0, v7
	s_cbranch_execz .LBB7_31
; %bb.26:
	v_bfe_u32 v17, v7, 23, 8
	v_and_b32_e32 v7, 0x7fffff, v7
	v_mov_b32_e32 v11, 0
	s_delay_alu instid0(VALU_DEP_3) | instskip(SKIP_1) | instid1(VALU_DEP_2)
	v_sub_nc_u32_e64 v10, 0x78, v17 clamp
	v_cmp_eq_u32_e32 vcc_lo, 0, v17
	v_cndmask_b32_e64 v23, v10, 0x77, vcc_lo
	v_or_b32_e32 v10, 0x800000, v7
	s_delay_alu instid0(VALU_DEP_2) | instskip(NEXT) | instid1(VALU_DEP_2)
	v_add_nc_u32_e32 v12, 20, v23
	v_cndmask_b32_e32 v10, v10, v7, vcc_lo
	v_add_nc_u32_e32 v7, 19, v23
	s_delay_alu instid0(VALU_DEP_3) | instskip(SKIP_1) | instid1(VALU_DEP_4)
	v_lshlrev_b64 v[12:13], v12, -1
	v_mov_b32_e32 v13, v11
	v_lshrrev_b64 v[21:22], v23, v[10:11]
	s_delay_alu instid0(VALU_DEP_4) | instskip(SKIP_2) | instid1(VALU_DEP_2)
	v_lshlrev_b64 v[14:15], v7, 1
	v_add_nc_u32_e32 v7, 0xffffff89, v17
	v_not_b32_e32 v12, v12
	v_cndmask_b32_e64 v7, v7, 0xffffff8a, vcc_lo
	s_delay_alu instid0(VALU_DEP_2) | instskip(SKIP_1) | instid1(VALU_DEP_2)
	v_and_b32_e32 v12, v10, v12
	v_and_b32_e32 v10, 0x100000, v21
	v_cmp_eq_u64_e64 s0, v[12:13], v[14:15]
	s_delay_alu instid0(VALU_DEP_2) | instskip(SKIP_1) | instid1(VALU_DEP_1)
	v_cmp_eq_u64_e64 s1, 0, v[10:11]
	v_lshrrev_b32_e32 v10, 23, v21
	v_add3_u32 v14, v7, v23, v10
	s_delay_alu instid0(VALU_DEP_3) | instskip(SKIP_2) | instid1(VALU_DEP_2)
	s_and_b32 vcc_lo, s1, s0
	s_mov_b32 s0, exec_lo
	v_subrev_co_ci_u32_e32 v12, vcc_lo, 0, v21, vcc_lo
	v_add_nc_u32_e32 v15, -1, v14
	s_delay_alu instid0(VALU_DEP_2) | instskip(NEXT) | instid1(VALU_DEP_1)
	v_and_b32_e32 v7, 0xfffff, v12
	v_add_co_u32 v12, vcc_lo, v7, v21
	v_add_co_ci_u32_e32 v13, vcc_lo, 0, v22, vcc_lo
                                        ; implicit-def: $vgpr7
	s_delay_alu instid0(VALU_DEP_4)
	v_cmpx_ne_u32_e32 0, v15
	s_xor_b32 s0, exec_lo, s0
; %bb.27:
	s_delay_alu instid0(VALU_DEP_3) | instskip(SKIP_1) | instid1(VALU_DEP_2)
	v_and_b32_e32 v10, 0x1000000, v12
	v_bfe_u32 v7, v12, 24, 1
	v_cmp_eq_u64_e32 vcc_lo, 0, v[10:11]
	s_delay_alu instid0(VALU_DEP_2)
	v_lshrrev_b64 v[12:13], v7, v[12:13]
	v_cndmask_b32_e32 v7, v14, v15, vcc_lo
; %bb.28:
	s_and_not1_saveexec_b32 s0, s0
; %bb.29:
	s_delay_alu instid0(VALU_DEP_2)
	v_bfe_u32 v7, v12, 23, 1
; %bb.30:
	s_or_b32 exec_lo, exec_lo, s0
	s_delay_alu instid0(VALU_DEP_3) | instskip(NEXT) | instid1(VALU_DEP_2)
	v_lshrrev_b64 v[10:11], 20, v[12:13]
	v_cmp_gt_i32_e32 vcc_lo, 16, v7
	v_and_b32_e32 v0, 0x80, v0
	v_min_i32_e32 v12, 15, v7
	v_cmp_eq_u32_e64 s0, 0, v7
	v_dual_cndmask_b32 v11, 0, v11 :: v_dual_cndmask_b32 v10, 7, v10
	s_delay_alu instid0(VALU_DEP_3) | instskip(NEXT) | instid1(VALU_DEP_2)
	v_lshl_or_b32 v0, v12, 3, v0
	v_cmp_eq_u64_e32 vcc_lo, 0, v[10:11]
	s_delay_alu instid0(VALU_DEP_2)
	v_and_or_b32 v0, v10, 7, v0
	s_and_b32 s0, s0, vcc_lo
	s_delay_alu instid0(VALU_DEP_1) | instid1(SALU_CYCLE_1)
	v_cndmask_b32_e64 v10, v0, 0, s0
.LBB7_31:
	s_or_b32 exec_lo, exec_lo, s12
.LBB7_32:
	s_and_not1_saveexec_b32 s0, s5
	s_delay_alu instid0(SALU_CYCLE_1)
	s_or_b32 exec_lo, exec_lo, s0
.LBB7_33:
	s_and_not1_saveexec_b32 s0, s4
	s_delay_alu instid0(SALU_CYCLE_1) | instskip(SKIP_3) | instid1(VALU_DEP_2)
	s_or_b32 exec_lo, exec_lo, s0
	v_and_b32_e32 v0, 0xffff0000, v1
	s_mov_b32 s0, 0x43600000
	v_mov_b32_e32 v12, 0
	v_mul_f32_e32 v0, v20, v0
	s_delay_alu instid0(VALU_DEP_1) | instskip(SKIP_1) | instid1(VALU_DEP_1)
	v_minmax_f32 v13, v0, s0, 0xc3600000
	s_mov_b32 s0, exec_lo
	v_and_b32_e32 v11, 0x7f800000, v13
	v_lshrrev_b32_e32 v7, 24, v13
	s_delay_alu instid0(VALU_DEP_1) | instskip(NEXT) | instid1(VALU_DEP_3)
	v_or_b32_e32 v0, 0x7f, v7
	v_cmpx_ne_u64_e32 0x7f800000, v[11:12]
	s_xor_b32 s4, exec_lo, s0
	s_cbranch_execz .LBB7_43
; %bb.34:
	v_and_b32_e32 v11, 0x7fffffff, v13
	s_mov_b32 s0, exec_lo
	s_delay_alu instid0(VALU_DEP_1)
	v_cmpx_gt_u64_e32 0x43700001, v[11:12]
	s_xor_b32 s5, exec_lo, s0
	s_cbranch_execz .LBB7_42
; %bb.35:
	s_mov_b32 s12, exec_lo
	v_mov_b32_e32 v0, 0
	v_mov_b32_e32 v1, 0
	v_cmpx_ne_u32_e32 0, v13
	s_cbranch_execz .LBB7_41
; %bb.36:
	v_bfe_u32 v15, v13, 23, 8
	v_mov_b32_e32 v1, 0
	v_and_b32_e32 v11, 0x7fffff, v13
	s_delay_alu instid0(VALU_DEP_3) | instskip(SKIP_2) | instid1(VALU_DEP_3)
	v_sub_nc_u32_e64 v0, 0x78, v15 clamp
	v_cmp_eq_u32_e32 vcc_lo, 0, v15
	v_add_nc_u32_e32 v15, 0xffffff89, v15
	v_cndmask_b32_e64 v17, v0, 0x77, vcc_lo
	v_or_b32_e32 v0, 0x800000, v11
	s_delay_alu instid0(VALU_DEP_2) | instskip(NEXT) | instid1(VALU_DEP_2)
	v_add_nc_u32_e32 v12, 20, v17
	v_dual_cndmask_b32 v0, v0, v11 :: v_dual_add_nc_u32 v13, 19, v17
	s_delay_alu instid0(VALU_DEP_2) | instskip(SKIP_1) | instid1(VALU_DEP_3)
	v_lshlrev_b64 v[11:12], v12, -1
	v_mov_b32_e32 v12, v1
	v_lshrrev_b64 v[21:22], v17, v[0:1]
	s_delay_alu instid0(VALU_DEP_4) | instskip(NEXT) | instid1(VALU_DEP_4)
	v_lshlrev_b64 v[13:14], v13, 1
	v_not_b32_e32 v11, v11
	s_delay_alu instid0(VALU_DEP_1) | instskip(NEXT) | instid1(VALU_DEP_4)
	v_and_b32_e32 v11, v0, v11
	v_and_b32_e32 v0, 0x100000, v21
	s_delay_alu instid0(VALU_DEP_2) | instskip(NEXT) | instid1(VALU_DEP_2)
	v_cmp_eq_u64_e64 s0, v[11:12], v[13:14]
	v_cmp_eq_u64_e64 s1, 0, v[0:1]
	v_cndmask_b32_e64 v0, v15, 0xffffff8a, vcc_lo
	v_lshrrev_b32_e32 v11, 23, v21
	s_delay_alu instid0(VALU_DEP_3) | instskip(NEXT) | instid1(VALU_DEP_1)
	s_and_b32 vcc_lo, s1, s0
	v_add3_u32 v13, v0, v17, v11
	s_mov_b32 s0, exec_lo
	v_subrev_co_ci_u32_e32 v12, vcc_lo, 0, v21, vcc_lo
	s_delay_alu instid0(VALU_DEP_2) | instskip(NEXT) | instid1(VALU_DEP_2)
	v_add_nc_u32_e32 v14, -1, v13
	v_and_b32_e32 v0, 0xfffff, v12
	s_delay_alu instid0(VALU_DEP_1) | instskip(SKIP_1) | instid1(VALU_DEP_4)
	v_add_co_u32 v11, vcc_lo, v0, v21
                                        ; implicit-def: $vgpr0
	v_add_co_ci_u32_e32 v12, vcc_lo, 0, v22, vcc_lo
	v_cmpx_ne_u32_e32 0, v14
	s_xor_b32 s0, exec_lo, s0
; %bb.37:
	s_delay_alu instid0(VALU_DEP_3) | instskip(SKIP_1) | instid1(VALU_DEP_2)
	v_and_b32_e32 v0, 0x1000000, v11
	v_bfe_u32 v15, v11, 24, 1
	v_cmp_eq_u64_e32 vcc_lo, 0, v[0:1]
	s_delay_alu instid0(VALU_DEP_2)
	v_lshrrev_b64 v[11:12], v15, v[11:12]
	v_cndmask_b32_e32 v0, v13, v14, vcc_lo
; %bb.38:
	s_and_not1_saveexec_b32 s0, s0
; %bb.39:
	s_delay_alu instid0(VALU_DEP_2)
	v_bfe_u32 v0, v11, 23, 1
; %bb.40:
	s_or_b32 exec_lo, exec_lo, s0
	s_delay_alu instid0(VALU_DEP_3) | instskip(NEXT) | instid1(VALU_DEP_2)
	v_lshrrev_b64 v[11:12], 20, v[11:12]
	v_cmp_gt_i32_e32 vcc_lo, 16, v0
	v_and_b32_e32 v1, 0x80, v7
	v_min_i32_e32 v7, 15, v0
	v_cmp_eq_u32_e64 s0, 0, v0
	v_dual_cndmask_b32 v12, 0, v12 :: v_dual_cndmask_b32 v11, 7, v11
	s_delay_alu instid0(VALU_DEP_3) | instskip(NEXT) | instid1(VALU_DEP_2)
	v_lshl_or_b32 v1, v7, 3, v1
	v_cmp_eq_u64_e32 vcc_lo, 0, v[11:12]
	s_delay_alu instid0(VALU_DEP_2)
	v_and_or_b32 v0, v11, 7, v1
	s_and_b32 s0, s0, vcc_lo
	s_delay_alu instid0(VALU_DEP_1) | instid1(SALU_CYCLE_1)
	v_cndmask_b32_e64 v0, v0, 0, s0
.LBB7_41:
	s_or_b32 exec_lo, exec_lo, s12
.LBB7_42:
	s_and_not1_saveexec_b32 s0, s5
	s_delay_alu instid0(SALU_CYCLE_1)
	s_or_b32 exec_lo, exec_lo, s0
.LBB7_43:
	s_and_not1_saveexec_b32 s0, s4
	s_delay_alu instid0(SALU_CYCLE_1) | instskip(SKIP_3) | instid1(VALU_DEP_2)
	s_or_b32 exec_lo, exec_lo, s0
	v_lshlrev_b32_e32 v1, 16, v2
	s_mov_b32 s0, 0x43600000
	v_mov_b32_e32 v13, 0
	v_mul_f32_e32 v1, v20, v1
	s_delay_alu instid0(VALU_DEP_1) | instskip(SKIP_1) | instid1(VALU_DEP_1)
	v_minmax_f32 v7, v1, s0, 0xc3600000
	s_mov_b32 s0, exec_lo
	v_and_b32_e32 v12, 0x7f800000, v7
	v_lshrrev_b32_e32 v1, 24, v7
	s_delay_alu instid0(VALU_DEP_1) | instskip(NEXT) | instid1(VALU_DEP_3)
	v_or_b32_e32 v11, 0x7f, v1
	v_cmpx_ne_u64_e32 0x7f800000, v[12:13]
	s_xor_b32 s4, exec_lo, s0
	s_cbranch_execz .LBB7_53
; %bb.44:
	v_and_b32_e32 v12, 0x7fffffff, v7
	s_mov_b32 s0, exec_lo
	s_delay_alu instid0(VALU_DEP_1)
	v_cmpx_gt_u64_e32 0x43700001, v[12:13]
	s_xor_b32 s5, exec_lo, s0
	s_cbranch_execz .LBB7_52
; %bb.45:
	s_mov_b32 s12, exec_lo
	v_mov_b32_e32 v11, 0
	v_mov_b32_e32 v12, 0
	v_cmpx_ne_u32_e32 0, v7
	s_cbranch_execz .LBB7_51
; %bb.46:
	v_bfe_u32 v15, v7, 23, 8
	v_dual_mov_b32 v12, 0 :: v_dual_and_b32 v7, 0x7fffff, v7
	s_delay_alu instid0(VALU_DEP_2) | instskip(SKIP_1) | instid1(VALU_DEP_2)
	v_sub_nc_u32_e64 v11, 0x78, v15 clamp
	v_cmp_eq_u32_e32 vcc_lo, 0, v15
	v_cndmask_b32_e64 v17, v11, 0x77, vcc_lo
	s_delay_alu instid0(VALU_DEP_4) | instskip(NEXT) | instid1(VALU_DEP_2)
	v_or_b32_e32 v11, 0x800000, v7
	v_add_nc_u32_e32 v13, 20, v17
	s_delay_alu instid0(VALU_DEP_2) | instskip(SKIP_1) | instid1(VALU_DEP_3)
	v_cndmask_b32_e32 v11, v11, v7, vcc_lo
	v_add_nc_u32_e32 v7, 19, v17
	v_lshlrev_b64 v[13:14], v13, -1
	v_mov_b32_e32 v14, v12
	s_delay_alu instid0(VALU_DEP_4) | instskip(NEXT) | instid1(VALU_DEP_4)
	v_lshrrev_b64 v[21:22], v17, v[11:12]
	v_lshlrev_b64 v[23:24], v7, 1
	v_add_nc_u32_e32 v7, 0xffffff89, v15
	v_not_b32_e32 v13, v13
	s_delay_alu instid0(VALU_DEP_2) | instskip(NEXT) | instid1(VALU_DEP_2)
	v_cndmask_b32_e64 v7, v7, 0xffffff8a, vcc_lo
	v_and_b32_e32 v13, v11, v13
	v_and_b32_e32 v11, 0x100000, v21
	s_delay_alu instid0(VALU_DEP_2) | instskip(NEXT) | instid1(VALU_DEP_2)
	v_cmp_eq_u64_e64 s0, v[13:14], v[23:24]
	v_cmp_eq_u64_e64 s1, 0, v[11:12]
	v_lshrrev_b32_e32 v11, 23, v21
	s_delay_alu instid0(VALU_DEP_1) | instskip(NEXT) | instid1(VALU_DEP_3)
	v_add3_u32 v15, v7, v17, v11
	s_and_b32 vcc_lo, s1, s0
	s_mov_b32 s0, exec_lo
	v_subrev_co_ci_u32_e32 v13, vcc_lo, 0, v21, vcc_lo
	s_delay_alu instid0(VALU_DEP_2) | instskip(NEXT) | instid1(VALU_DEP_2)
	v_add_nc_u32_e32 v17, -1, v15
	v_and_b32_e32 v7, 0xfffff, v13
	s_delay_alu instid0(VALU_DEP_1) | instskip(SKIP_1) | instid1(VALU_DEP_4)
	v_add_co_u32 v13, vcc_lo, v7, v21
	v_add_co_ci_u32_e32 v14, vcc_lo, 0, v22, vcc_lo
                                        ; implicit-def: $vgpr7
	v_cmpx_ne_u32_e32 0, v17
	s_xor_b32 s0, exec_lo, s0
; %bb.47:
	s_delay_alu instid0(VALU_DEP_3) | instskip(SKIP_1) | instid1(VALU_DEP_2)
	v_and_b32_e32 v11, 0x1000000, v13
	v_bfe_u32 v7, v13, 24, 1
	v_cmp_eq_u64_e32 vcc_lo, 0, v[11:12]
	s_delay_alu instid0(VALU_DEP_2)
	v_lshrrev_b64 v[13:14], v7, v[13:14]
	v_cndmask_b32_e32 v7, v15, v17, vcc_lo
; %bb.48:
	s_and_not1_saveexec_b32 s0, s0
; %bb.49:
	s_delay_alu instid0(VALU_DEP_2)
	v_bfe_u32 v7, v13, 23, 1
; %bb.50:
	s_or_b32 exec_lo, exec_lo, s0
	s_delay_alu instid0(VALU_DEP_3) | instskip(NEXT) | instid1(VALU_DEP_2)
	v_lshrrev_b64 v[11:12], 20, v[13:14]
	v_cmp_gt_i32_e32 vcc_lo, 16, v7
	v_and_b32_e32 v1, 0x80, v1
	v_min_i32_e32 v13, 15, v7
	v_cmp_eq_u32_e64 s0, 0, v7
	v_dual_cndmask_b32 v12, 0, v12 :: v_dual_cndmask_b32 v11, 7, v11
	s_delay_alu instid0(VALU_DEP_3) | instskip(NEXT) | instid1(VALU_DEP_2)
	v_lshl_or_b32 v1, v13, 3, v1
	v_cmp_eq_u64_e32 vcc_lo, 0, v[11:12]
	s_delay_alu instid0(VALU_DEP_2)
	v_and_or_b32 v1, v11, 7, v1
	s_and_b32 s0, s0, vcc_lo
	s_delay_alu instid0(VALU_DEP_1) | instid1(SALU_CYCLE_1)
	v_cndmask_b32_e64 v11, v1, 0, s0
.LBB7_51:
	s_or_b32 exec_lo, exec_lo, s12
.LBB7_52:
	s_and_not1_saveexec_b32 s0, s5
	s_delay_alu instid0(SALU_CYCLE_1)
	s_or_b32 exec_lo, exec_lo, s0
.LBB7_53:
	s_and_not1_saveexec_b32 s0, s4
	s_delay_alu instid0(SALU_CYCLE_1) | instskip(SKIP_3) | instid1(VALU_DEP_2)
	s_or_b32 exec_lo, exec_lo, s0
	v_and_b32_e32 v1, 0xffff0000, v2
	s_mov_b32 s0, 0x43600000
	v_mov_b32_e32 v13, 0
	v_mul_f32_e32 v1, v20, v1
	s_delay_alu instid0(VALU_DEP_1) | instskip(SKIP_1) | instid1(VALU_DEP_1)
	v_minmax_f32 v14, v1, s0, 0xc3600000
	s_mov_b32 s0, exec_lo
	v_and_b32_e32 v12, 0x7f800000, v14
	v_lshrrev_b32_e32 v7, 24, v14
	s_delay_alu instid0(VALU_DEP_1) | instskip(NEXT) | instid1(VALU_DEP_3)
	v_or_b32_e32 v1, 0x7f, v7
	v_cmpx_ne_u64_e32 0x7f800000, v[12:13]
	s_xor_b32 s4, exec_lo, s0
	s_cbranch_execz .LBB7_63
; %bb.54:
	v_and_b32_e32 v12, 0x7fffffff, v14
	s_mov_b32 s0, exec_lo
	s_delay_alu instid0(VALU_DEP_1)
	v_cmpx_gt_u64_e32 0x43700001, v[12:13]
	s_xor_b32 s5, exec_lo, s0
	s_cbranch_execz .LBB7_62
; %bb.55:
	s_mov_b32 s12, exec_lo
	v_mov_b32_e32 v1, 0
	v_mov_b32_e32 v2, 0
	v_cmpx_ne_u32_e32 0, v14
	s_cbranch_execz .LBB7_61
; %bb.56:
	v_bfe_u32 v17, v14, 23, 8
	v_mov_b32_e32 v2, 0
	v_and_b32_e32 v12, 0x7fffff, v14
	s_delay_alu instid0(VALU_DEP_3) | instskip(SKIP_2) | instid1(VALU_DEP_3)
	v_sub_nc_u32_e64 v1, 0x78, v17 clamp
	v_cmp_eq_u32_e32 vcc_lo, 0, v17
	v_add_nc_u32_e32 v17, 0xffffff89, v17
	v_cndmask_b32_e64 v23, v1, 0x77, vcc_lo
	v_or_b32_e32 v1, 0x800000, v12
	s_delay_alu instid0(VALU_DEP_2) | instskip(NEXT) | instid1(VALU_DEP_2)
	v_add_nc_u32_e32 v13, 20, v23
	v_dual_cndmask_b32 v1, v1, v12 :: v_dual_add_nc_u32 v14, 19, v23
	s_delay_alu instid0(VALU_DEP_2) | instskip(SKIP_1) | instid1(VALU_DEP_3)
	v_lshlrev_b64 v[12:13], v13, -1
	v_mov_b32_e32 v13, v2
	v_lshrrev_b64 v[21:22], v23, v[1:2]
	s_delay_alu instid0(VALU_DEP_4) | instskip(NEXT) | instid1(VALU_DEP_4)
	v_lshlrev_b64 v[14:15], v14, 1
	v_not_b32_e32 v12, v12
	s_delay_alu instid0(VALU_DEP_1) | instskip(NEXT) | instid1(VALU_DEP_4)
	v_and_b32_e32 v12, v1, v12
	v_and_b32_e32 v1, 0x100000, v21
	s_delay_alu instid0(VALU_DEP_2) | instskip(NEXT) | instid1(VALU_DEP_2)
	v_cmp_eq_u64_e64 s0, v[12:13], v[14:15]
	v_cmp_eq_u64_e64 s1, 0, v[1:2]
	v_cndmask_b32_e64 v1, v17, 0xffffff8a, vcc_lo
	v_lshrrev_b32_e32 v12, 23, v21
	s_delay_alu instid0(VALU_DEP_3) | instskip(NEXT) | instid1(VALU_DEP_1)
	s_and_b32 vcc_lo, s1, s0
	v_add3_u32 v14, v1, v23, v12
	s_mov_b32 s0, exec_lo
	v_subrev_co_ci_u32_e32 v13, vcc_lo, 0, v21, vcc_lo
	s_delay_alu instid0(VALU_DEP_2) | instskip(NEXT) | instid1(VALU_DEP_2)
	v_add_nc_u32_e32 v15, -1, v14
	v_and_b32_e32 v1, 0xfffff, v13
	s_delay_alu instid0(VALU_DEP_1) | instskip(SKIP_1) | instid1(VALU_DEP_4)
	v_add_co_u32 v12, vcc_lo, v1, v21
                                        ; implicit-def: $vgpr1
	v_add_co_ci_u32_e32 v13, vcc_lo, 0, v22, vcc_lo
	v_cmpx_ne_u32_e32 0, v15
	s_xor_b32 s0, exec_lo, s0
; %bb.57:
	s_delay_alu instid0(VALU_DEP_3) | instskip(SKIP_1) | instid1(VALU_DEP_2)
	v_and_b32_e32 v1, 0x1000000, v12
	v_bfe_u32 v17, v12, 24, 1
	v_cmp_eq_u64_e32 vcc_lo, 0, v[1:2]
	s_delay_alu instid0(VALU_DEP_2)
	v_lshrrev_b64 v[12:13], v17, v[12:13]
	v_cndmask_b32_e32 v1, v14, v15, vcc_lo
; %bb.58:
	s_and_not1_saveexec_b32 s0, s0
; %bb.59:
	s_delay_alu instid0(VALU_DEP_2)
	v_bfe_u32 v1, v12, 23, 1
; %bb.60:
	s_or_b32 exec_lo, exec_lo, s0
	s_delay_alu instid0(VALU_DEP_3) | instskip(NEXT) | instid1(VALU_DEP_2)
	v_lshrrev_b64 v[12:13], 20, v[12:13]
	v_cmp_gt_i32_e32 vcc_lo, 16, v1
	v_and_b32_e32 v2, 0x80, v7
	v_min_i32_e32 v7, 15, v1
	v_cmp_eq_u32_e64 s0, 0, v1
	v_dual_cndmask_b32 v13, 0, v13 :: v_dual_cndmask_b32 v12, 7, v12
	s_delay_alu instid0(VALU_DEP_3) | instskip(NEXT) | instid1(VALU_DEP_2)
	v_lshl_or_b32 v2, v7, 3, v2
	v_cmp_eq_u64_e32 vcc_lo, 0, v[12:13]
	s_delay_alu instid0(VALU_DEP_2)
	v_and_or_b32 v1, v12, 7, v2
	s_and_b32 s0, s0, vcc_lo
	s_delay_alu instid0(VALU_DEP_1) | instid1(SALU_CYCLE_1)
	v_cndmask_b32_e64 v1, v1, 0, s0
.LBB7_61:
	s_or_b32 exec_lo, exec_lo, s12
.LBB7_62:
	s_and_not1_saveexec_b32 s0, s5
	s_delay_alu instid0(SALU_CYCLE_1)
	s_or_b32 exec_lo, exec_lo, s0
.LBB7_63:
	s_and_not1_saveexec_b32 s0, s4
	s_delay_alu instid0(SALU_CYCLE_1) | instskip(SKIP_3) | instid1(VALU_DEP_2)
	s_or_b32 exec_lo, exec_lo, s0
	v_lshlrev_b32_e32 v2, 16, v3
	s_mov_b32 s0, 0x43600000
	v_mov_b32_e32 v14, 0
	v_mul_f32_e32 v2, v20, v2
	s_delay_alu instid0(VALU_DEP_1) | instskip(SKIP_1) | instid1(VALU_DEP_1)
	v_minmax_f32 v7, v2, s0, 0xc3600000
	s_mov_b32 s0, exec_lo
	v_and_b32_e32 v13, 0x7f800000, v7
	v_lshrrev_b32_e32 v2, 24, v7
	s_delay_alu instid0(VALU_DEP_1) | instskip(NEXT) | instid1(VALU_DEP_3)
	v_or_b32_e32 v12, 0x7f, v2
	v_cmpx_ne_u64_e32 0x7f800000, v[13:14]
	s_xor_b32 s4, exec_lo, s0
	s_cbranch_execz .LBB7_73
; %bb.64:
	v_and_b32_e32 v13, 0x7fffffff, v7
	s_mov_b32 s0, exec_lo
	s_delay_alu instid0(VALU_DEP_1)
	v_cmpx_gt_u64_e32 0x43700001, v[13:14]
	s_xor_b32 s5, exec_lo, s0
	s_cbranch_execz .LBB7_72
; %bb.65:
	s_mov_b32 s12, exec_lo
	v_mov_b32_e32 v12, 0
	v_mov_b32_e32 v13, 0
	v_cmpx_ne_u32_e32 0, v7
	s_cbranch_execz .LBB7_71
; %bb.66:
	v_bfe_u32 v17, v7, 23, 8
	v_and_b32_e32 v7, 0x7fffff, v7
	v_mov_b32_e32 v13, 0
	s_delay_alu instid0(VALU_DEP_3) | instskip(SKIP_1) | instid1(VALU_DEP_2)
	v_sub_nc_u32_e64 v12, 0x78, v17 clamp
	v_cmp_eq_u32_e32 vcc_lo, 0, v17
	v_cndmask_b32_e64 v21, v12, 0x77, vcc_lo
	v_or_b32_e32 v12, 0x800000, v7
	s_delay_alu instid0(VALU_DEP_2) | instskip(NEXT) | instid1(VALU_DEP_2)
	v_add_nc_u32_e32 v14, 20, v21
	v_dual_cndmask_b32 v12, v12, v7 :: v_dual_add_nc_u32 v7, 19, v21
	s_delay_alu instid0(VALU_DEP_2) | instskip(NEXT) | instid1(VALU_DEP_2)
	v_lshlrev_b64 v[14:15], v14, -1
	v_lshrrev_b64 v[22:23], v21, v[12:13]
	s_delay_alu instid0(VALU_DEP_3) | instskip(SKIP_1) | instid1(VALU_DEP_4)
	v_lshlrev_b64 v[24:25], v7, 1
	v_add_nc_u32_e32 v7, 0xffffff89, v17
	v_not_b32_e32 v14, v14
	v_mov_b32_e32 v15, v13
	s_delay_alu instid0(VALU_DEP_3) | instskip(NEXT) | instid1(VALU_DEP_3)
	v_cndmask_b32_e64 v7, v7, 0xffffff8a, vcc_lo
	v_and_b32_e32 v14, v12, v14
	v_and_b32_e32 v12, 0x100000, v22
	s_delay_alu instid0(VALU_DEP_2) | instskip(NEXT) | instid1(VALU_DEP_2)
	v_cmp_eq_u64_e64 s0, v[14:15], v[24:25]
	v_cmp_eq_u64_e64 s1, 0, v[12:13]
	v_lshrrev_b32_e32 v12, 23, v22
	s_delay_alu instid0(VALU_DEP_1) | instskip(NEXT) | instid1(VALU_DEP_3)
	v_add3_u32 v17, v7, v21, v12
	s_and_b32 vcc_lo, s1, s0
	s_mov_b32 s0, exec_lo
	v_subrev_co_ci_u32_e32 v14, vcc_lo, 0, v22, vcc_lo
	s_delay_alu instid0(VALU_DEP_2) | instskip(NEXT) | instid1(VALU_DEP_2)
	v_add_nc_u32_e32 v21, -1, v17
	v_and_b32_e32 v7, 0xfffff, v14
	s_delay_alu instid0(VALU_DEP_1) | instskip(SKIP_1) | instid1(VALU_DEP_4)
	v_add_co_u32 v14, vcc_lo, v7, v22
	v_add_co_ci_u32_e32 v15, vcc_lo, 0, v23, vcc_lo
                                        ; implicit-def: $vgpr7
	v_cmpx_ne_u32_e32 0, v21
	s_xor_b32 s0, exec_lo, s0
; %bb.67:
	s_delay_alu instid0(VALU_DEP_3) | instskip(SKIP_1) | instid1(VALU_DEP_2)
	v_and_b32_e32 v12, 0x1000000, v14
	v_bfe_u32 v7, v14, 24, 1
	v_cmp_eq_u64_e32 vcc_lo, 0, v[12:13]
	s_delay_alu instid0(VALU_DEP_2)
	v_lshrrev_b64 v[14:15], v7, v[14:15]
	v_cndmask_b32_e32 v7, v17, v21, vcc_lo
; %bb.68:
	s_and_not1_saveexec_b32 s0, s0
; %bb.69:
	s_delay_alu instid0(VALU_DEP_2)
	v_bfe_u32 v7, v14, 23, 1
; %bb.70:
	s_or_b32 exec_lo, exec_lo, s0
	s_delay_alu instid0(VALU_DEP_3) | instskip(NEXT) | instid1(VALU_DEP_2)
	v_lshrrev_b64 v[12:13], 20, v[14:15]
	v_cmp_gt_i32_e32 vcc_lo, 16, v7
	v_and_b32_e32 v2, 0x80, v2
	v_min_i32_e32 v14, 15, v7
	v_cmp_eq_u32_e64 s0, 0, v7
	v_dual_cndmask_b32 v13, 0, v13 :: v_dual_cndmask_b32 v12, 7, v12
	s_delay_alu instid0(VALU_DEP_3) | instskip(NEXT) | instid1(VALU_DEP_2)
	v_lshl_or_b32 v2, v14, 3, v2
	v_cmp_eq_u64_e32 vcc_lo, 0, v[12:13]
	s_delay_alu instid0(VALU_DEP_2)
	v_and_or_b32 v2, v12, 7, v2
	s_and_b32 s0, s0, vcc_lo
	s_delay_alu instid0(VALU_DEP_1) | instid1(SALU_CYCLE_1)
	v_cndmask_b32_e64 v12, v2, 0, s0
.LBB7_71:
	s_or_b32 exec_lo, exec_lo, s12
.LBB7_72:
	s_and_not1_saveexec_b32 s0, s5
	s_delay_alu instid0(SALU_CYCLE_1)
	s_or_b32 exec_lo, exec_lo, s0
.LBB7_73:
	s_and_not1_saveexec_b32 s0, s4
	s_delay_alu instid0(SALU_CYCLE_1) | instskip(SKIP_3) | instid1(VALU_DEP_2)
	s_or_b32 exec_lo, exec_lo, s0
	v_and_b32_e32 v2, 0xffff0000, v3
	s_mov_b32 s0, 0x43600000
	v_mov_b32_e32 v14, 0
	v_mul_f32_e32 v2, v20, v2
	s_delay_alu instid0(VALU_DEP_1) | instskip(SKIP_1) | instid1(VALU_DEP_1)
	v_minmax_f32 v15, v2, s0, 0xc3600000
	s_mov_b32 s0, exec_lo
	v_and_b32_e32 v13, 0x7f800000, v15
	v_lshrrev_b32_e32 v7, 24, v15
	s_delay_alu instid0(VALU_DEP_1) | instskip(NEXT) | instid1(VALU_DEP_3)
	v_or_b32_e32 v2, 0x7f, v7
	v_cmpx_ne_u64_e32 0x7f800000, v[13:14]
	s_xor_b32 s4, exec_lo, s0
	s_cbranch_execz .LBB7_83
; %bb.74:
	v_and_b32_e32 v13, 0x7fffffff, v15
	s_mov_b32 s0, exec_lo
	s_delay_alu instid0(VALU_DEP_1)
	v_cmpx_gt_u64_e32 0x43700001, v[13:14]
	s_xor_b32 s5, exec_lo, s0
	s_cbranch_execz .LBB7_82
; %bb.75:
	s_mov_b32 s12, exec_lo
	v_mov_b32_e32 v2, 0
	v_mov_b32_e32 v3, 0
	v_cmpx_ne_u32_e32 0, v15
	s_cbranch_execz .LBB7_81
; %bb.76:
	v_bfe_u32 v17, v15, 23, 8
	s_delay_alu instid0(VALU_DEP_1)
	v_sub_nc_u32_e64 v2, 0x78, v17 clamp
	v_cmp_eq_u32_e32 vcc_lo, 0, v17
	v_mov_b32_e32 v3, 0
	v_and_b32_e32 v13, 0x7fffff, v15
	v_add_nc_u32_e32 v17, 0xffffff89, v17
	v_cndmask_b32_e64 v15, v2, 0x77, vcc_lo
	s_delay_alu instid0(VALU_DEP_3) | instskip(NEXT) | instid1(VALU_DEP_2)
	v_or_b32_e32 v2, 0x800000, v13
	v_add_nc_u32_e32 v14, 20, v15
	v_add_nc_u32_e32 v22, 19, v15
	s_delay_alu instid0(VALU_DEP_3) | instskip(NEXT) | instid1(VALU_DEP_3)
	v_cndmask_b32_e32 v2, v2, v13, vcc_lo
	v_lshlrev_b64 v[13:14], v14, -1
	v_mov_b32_e32 v14, v3
	s_delay_alu instid0(VALU_DEP_3) | instskip(SKIP_1) | instid1(VALU_DEP_4)
	v_lshrrev_b64 v[20:21], v15, v[2:3]
	v_lshlrev_b64 v[22:23], v22, 1
	v_not_b32_e32 v13, v13
	s_delay_alu instid0(VALU_DEP_1) | instskip(NEXT) | instid1(VALU_DEP_4)
	v_and_b32_e32 v13, v2, v13
	v_and_b32_e32 v2, 0x100000, v20
	s_delay_alu instid0(VALU_DEP_2) | instskip(NEXT) | instid1(VALU_DEP_2)
	v_cmp_eq_u64_e64 s0, v[13:14], v[22:23]
	v_cmp_eq_u64_e64 s1, 0, v[2:3]
	v_cndmask_b32_e64 v2, v17, 0xffffff8a, vcc_lo
	v_lshrrev_b32_e32 v13, 23, v20
	s_delay_alu instid0(VALU_DEP_3) | instskip(NEXT) | instid1(VALU_DEP_1)
	s_and_b32 vcc_lo, s1, s0
	v_add3_u32 v15, v2, v15, v13
	v_subrev_co_ci_u32_e32 v14, vcc_lo, 0, v20, vcc_lo
	s_mov_b32 s0, exec_lo
	s_delay_alu instid0(VALU_DEP_2) | instskip(NEXT) | instid1(VALU_DEP_2)
	v_add_nc_u32_e32 v17, -1, v15
	v_and_b32_e32 v2, 0xfffff, v14
	s_delay_alu instid0(VALU_DEP_1) | instskip(SKIP_1) | instid1(VALU_DEP_4)
	v_add_co_u32 v13, vcc_lo, v2, v20
	v_add_co_ci_u32_e32 v14, vcc_lo, 0, v21, vcc_lo
                                        ; implicit-def: $vgpr2
	v_cmpx_ne_u32_e32 0, v17
	s_xor_b32 s0, exec_lo, s0
; %bb.77:
	s_delay_alu instid0(VALU_DEP_3) | instskip(SKIP_1) | instid1(VALU_DEP_2)
	v_and_b32_e32 v2, 0x1000000, v13
	v_bfe_u32 v20, v13, 24, 1
	v_cmp_eq_u64_e32 vcc_lo, 0, v[2:3]
	s_delay_alu instid0(VALU_DEP_2)
	v_lshrrev_b64 v[13:14], v20, v[13:14]
	v_cndmask_b32_e32 v2, v15, v17, vcc_lo
; %bb.78:
	s_and_not1_saveexec_b32 s0, s0
; %bb.79:
	s_delay_alu instid0(VALU_DEP_2)
	v_bfe_u32 v2, v13, 23, 1
; %bb.80:
	s_or_b32 exec_lo, exec_lo, s0
	s_delay_alu instid0(VALU_DEP_3) | instskip(NEXT) | instid1(VALU_DEP_2)
	v_lshrrev_b64 v[13:14], 20, v[13:14]
	v_cmp_gt_i32_e32 vcc_lo, 16, v2
	v_and_b32_e32 v3, 0x80, v7
	v_min_i32_e32 v7, 15, v2
	v_cmp_eq_u32_e64 s0, 0, v2
	v_dual_cndmask_b32 v14, 0, v14 :: v_dual_cndmask_b32 v13, 7, v13
	s_delay_alu instid0(VALU_DEP_3) | instskip(NEXT) | instid1(VALU_DEP_2)
	v_lshl_or_b32 v3, v7, 3, v3
	v_cmp_eq_u64_e32 vcc_lo, 0, v[13:14]
	s_delay_alu instid0(VALU_DEP_2)
	v_and_or_b32 v2, v13, 7, v3
	s_and_b32 s0, s0, vcc_lo
	s_delay_alu instid0(VALU_DEP_1) | instid1(SALU_CYCLE_1)
	v_cndmask_b32_e64 v2, v2, 0, s0
.LBB7_81:
	s_or_b32 exec_lo, exec_lo, s12
.LBB7_82:
	s_and_not1_saveexec_b32 s0, s5
	s_delay_alu instid0(SALU_CYCLE_1)
	s_or_b32 exec_lo, exec_lo, s0
.LBB7_83:
	s_and_not1_saveexec_b32 s0, s4
	s_delay_alu instid0(SALU_CYCLE_1)
	s_or_b32 exec_lo, exec_lo, s0
	v_lshlrev_b32_e32 v3, 16, v12
	v_lshlrev_b32_e32 v7, 16, v10
	;; [unrolled: 1-line block ×5, first 2 shown]
	v_and_b32_e32 v3, 0xff0000, v3
	v_perm_b32 v0, v0, v7, 0x4020c0c
	v_lshlrev_b64 v[12:13], 3, v[8:9]
	v_and_b32_e32 v7, 0xff, v11
	v_and_b32_e32 v9, 0xff00, v1
	v_or_b32_e32 v2, v2, v3
	v_and_b32_e32 v5, 0xff, v5
	v_and_or_b32 v6, 0xff00, v6, v0
	v_add_co_u32 v0, vcc_lo, v18, v12
	v_add_co_ci_u32_e32 v1, vcc_lo, v19, v13, vcc_lo
	v_or3_b32 v3, v2, v9, v7
	s_delay_alu instid0(VALU_DEP_4)
	v_or_b32_e32 v2, v6, v5
	global_store_b64 v[0:1], v[2:3], off
.LBB7_84:
	s_or_b32 exec_lo, exec_lo, s3
	v_cmp_eq_u32_e32 vcc_lo, 0, v8
	s_cmp_lg_u64 s[6:7], 0
	s_cselect_b32 s0, -1, 0
	s_delay_alu instid0(SALU_CYCLE_1) | instskip(NEXT) | instid1(SALU_CYCLE_1)
	s_and_b32 s1, s0, vcc_lo
	s_and_saveexec_b32 s0, s1
	s_cbranch_execz .LBB7_86
; %bb.85:
	v_mad_u64_u32 v[0:1], null, v16, s16, v[4:5]
	v_mov_b32_e32 v1, 0
	s_delay_alu instid0(VALU_DEP_1) | instskip(NEXT) | instid1(VALU_DEP_1)
	v_lshlrev_b64 v[0:1], 2, v[0:1]
	v_add_co_u32 v2, vcc_lo, s14, v0
	s_delay_alu instid0(VALU_DEP_2)
	v_add_co_ci_u32_e32 v3, vcc_lo, s15, v1, vcc_lo
	v_add_co_u32 v0, vcc_lo, s6, v0
	v_add_co_ci_u32_e32 v1, vcc_lo, s7, v1, vcc_lo
	global_load_b32 v2, v[2:3], off
	s_waitcnt vmcnt(0)
	global_store_b32 v[0:1], v2, off
.LBB7_86:
	s_or_b32 exec_lo, exec_lo, s0
                                        ; implicit-def: $vgpr8
                                        ; implicit-def: $vgpr4
                                        ; implicit-def: $vgpr16
                                        ; implicit-def: $vgpr5
                                        ; implicit-def: $vgpr0_vgpr1
                                        ; implicit-def: $vgpr20
                                        ; implicit-def: $vgpr2
                                        ; implicit-def: $vgpr3
                                        ; implicit-def: $vgpr18
                                        ; implicit-def: $vgpr19
.LBB7_87:
	s_and_not1_saveexec_b32 s0, s2
	s_cbranch_execz .LBB7_259
; %bb.88:
	v_mad_u64_u32 v[6:7], null, v16, s16, v[4:5]
	v_mov_b32_e32 v7, 0
	s_mov_b32 s1, exec_lo
	s_delay_alu instid0(VALU_DEP_1) | instskip(NEXT) | instid1(VALU_DEP_1)
	v_lshlrev_b64 v[10:11], 2, v[6:7]
	v_add_co_u32 v6, vcc_lo, s10, v10
	s_delay_alu instid0(VALU_DEP_2)
	v_add_co_ci_u32_e32 v7, vcc_lo, s11, v11, vcc_lo
	v_add_co_u32 v12, vcc_lo, s14, v10
	v_add_co_ci_u32_e32 v13, vcc_lo, s15, v11, vcc_lo
	global_load_b32 v4, v[6:7], off
	global_load_b32 v6, v[12:13], off
	s_waitcnt vmcnt(1)
	v_cmp_neq_f32_e64 vcc_lo, 0x7f800000, |v4|
	v_cndmask_b32_e32 v4, 0xff800000, v4, vcc_lo
	s_waitcnt vmcnt(0)
	v_cmp_neq_f32_e64 vcc_lo, 0x7f800000, |v6|
	s_delay_alu instid0(VALU_DEP_2) | instskip(SKIP_2) | instid1(VALU_DEP_3)
	v_dual_max_f32 v7, v4, v4 :: v_dual_cndmask_b32 v6, 0xff800000, v6
	v_add_co_u32 v0, vcc_lo, s8, v0
	v_add_co_ci_u32_e32 v1, vcc_lo, s9, v1, vcc_lo
	v_max_f32_e32 v9, v6, v6
	s_delay_alu instid0(VALU_DEP_1) | instskip(NEXT) | instid1(VALU_DEP_1)
	v_max_f32_e32 v21, v7, v9
	v_cmpx_neq_f32_e64 0x7f800000, |v21|
	s_xor_b32 s2, exec_lo, s1
	s_cbranch_execz .LBB7_174
; %bb.89:
	v_sub_f32_e32 v6, v6, v21
	v_sub_f32_e32 v4, v4, v21
	s_mov_b32 s3, exec_lo
	s_delay_alu instid0(VALU_DEP_2) | instskip(NEXT) | instid1(VALU_DEP_2)
	v_mul_f32_e32 v9, 0x3fb8aa3b, v6
	v_mul_f32_e32 v7, 0x3fb8aa3b, v4
	v_cmp_ngt_f32_e32 vcc_lo, 0xc2ce8ed0, v4
	s_delay_alu instid0(VALU_DEP_3) | instskip(NEXT) | instid1(VALU_DEP_3)
	v_fma_f32 v14, 0x3fb8aa3b, v6, -v9
	v_fma_f32 v12, 0x3fb8aa3b, v4, -v7
	v_rndne_f32_e32 v13, v7
	v_rndne_f32_e32 v15, v9
	s_delay_alu instid0(VALU_DEP_4) | instskip(NEXT) | instid1(VALU_DEP_3)
	v_fmac_f32_e32 v14, 0x32a5705f, v6
	v_dual_fmac_f32 v12, 0x32a5705f, v4 :: v_dual_sub_f32 v7, v7, v13
	s_delay_alu instid0(VALU_DEP_3) | instskip(NEXT) | instid1(VALU_DEP_2)
	v_sub_f32_e32 v9, v9, v15
	v_add_f32_e32 v7, v7, v12
	v_cvt_i32_f32_e32 v12, v13
	v_cvt_i32_f32_e32 v13, v15
	s_delay_alu instid0(VALU_DEP_3) | instskip(SKIP_2) | instid1(VALU_DEP_1)
	v_exp_f32_e32 v7, v7
	s_waitcnt_depctr 0xfff
	v_ldexp_f32 v7, v7, v12
	v_cndmask_b32_e32 v7, 0, v7, vcc_lo
	v_add_f32_e32 v9, v9, v14
	v_cmp_ngt_f32_e32 vcc_lo, 0xc2ce8ed0, v6
	s_delay_alu instid0(VALU_DEP_2) | instskip(SKIP_2) | instid1(VALU_DEP_1)
	v_exp_f32_e32 v9, v9
	s_waitcnt_depctr 0xfff
	v_ldexp_f32 v9, v9, v13
	v_cndmask_b32_e32 v9, 0, v9, vcc_lo
	v_cmp_nlt_f32_e32 vcc_lo, 0x42b17218, v4
	v_cndmask_b32_e32 v12, 0x7f800000, v7, vcc_lo
	v_cmp_nlt_f32_e32 vcc_lo, 0x42b17218, v6
	s_delay_alu instid0(VALU_DEP_4) | instskip(NEXT) | instid1(VALU_DEP_1)
	v_cndmask_b32_e32 v13, 0x7f800000, v9, vcc_lo
	v_add_f32_e32 v22, v12, v13
	v_cmpx_gt_u32_e64 s18, v5
	s_cbranch_execz .LBB7_171
; %bb.90:
	s_delay_alu instid0(VALU_DEP_2) | instskip(SKIP_1) | instid1(VALU_DEP_2)
	v_div_scale_f32 v14, null, v22, v22, v13
	v_div_scale_f32 v15, null, v22, v22, v12
	v_rcp_f32_e32 v16, v14
	s_delay_alu instid0(VALU_DEP_1) | instskip(SKIP_4) | instid1(VALU_DEP_3)
	v_rcp_f32_e32 v17, v15
	s_waitcnt_depctr 0xfff
	v_fma_f32 v23, -v14, v16, 1.0
	v_mov_b32_e32 v9, 0
	v_fma_f32 v24, -v15, v17, 1.0
	v_fmac_f32_e32 v16, v23, v16
	s_delay_alu instid0(VALU_DEP_3) | instskip(SKIP_1) | instid1(VALU_DEP_2)
	v_lshlrev_b64 v[4:5], 4, v[8:9]
	v_div_scale_f32 v23, s0, v12, v22, v12
	v_add_co_u32 v2, vcc_lo, v2, v4
	s_delay_alu instid0(VALU_DEP_3)
	v_add_co_ci_u32_e32 v3, vcc_lo, v3, v5, vcc_lo
	v_add_co_u32 v0, vcc_lo, v0, v4
	v_add_co_ci_u32_e32 v1, vcc_lo, v1, v5, vcc_lo
	global_load_b128 v[4:7], v[2:3], off
	global_load_b128 v[0:3], v[0:1], off
	v_div_scale_f32 v25, vcc_lo, v13, v22, v13
	s_delay_alu instid0(VALU_DEP_1) | instskip(NEXT) | instid1(VALU_DEP_1)
	v_dual_fmac_f32 v17, v24, v17 :: v_dual_mul_f32 v24, v25, v16
	v_mul_f32_e32 v26, v23, v17
	s_delay_alu instid0(VALU_DEP_2) | instskip(NEXT) | instid1(VALU_DEP_2)
	v_fma_f32 v27, -v14, v24, v25
	v_fma_f32 v28, -v15, v26, v23
	s_delay_alu instid0(VALU_DEP_2) | instskip(NEXT) | instid1(VALU_DEP_2)
	v_fmac_f32_e32 v24, v27, v16
	v_fmac_f32_e32 v26, v28, v17
	s_delay_alu instid0(VALU_DEP_2) | instskip(NEXT) | instid1(VALU_DEP_2)
	v_fma_f32 v14, -v14, v24, v25
	v_fma_f32 v15, -v15, v26, v23
	s_delay_alu instid0(VALU_DEP_2) | instskip(SKIP_2) | instid1(VALU_DEP_2)
	v_div_fmas_f32 v14, v14, v16, v24
	s_mov_b32 vcc_lo, s0
	s_mov_b32 s0, 0x43600000
	v_div_fmas_f32 v15, v15, v17, v26
	s_delay_alu instid0(VALU_DEP_2) | instskip(NEXT) | instid1(VALU_DEP_2)
	v_div_fixup_f32 v23, v14, v22, v13
	v_div_fixup_f32 v24, v15, v22, v12
	s_waitcnt vmcnt(1)
	v_lshlrev_b32_e32 v13, 16, v4
	s_waitcnt vmcnt(0)
	s_delay_alu instid0(VALU_DEP_1) | instskip(NEXT) | instid1(VALU_DEP_1)
	v_dual_mul_f32 v13, v23, v13 :: v_dual_lshlrev_b32 v12, 16, v0
	v_fmac_f32_e32 v13, v24, v12
	s_delay_alu instid0(VALU_DEP_1) | instskip(NEXT) | instid1(VALU_DEP_1)
	v_dual_mul_f32 v12, v20, v13 :: v_dual_mov_b32 v13, v9
	v_minmax_f32 v14, v12, s0, 0xc3600000
	s_delay_alu instid0(VALU_DEP_1) | instskip(SKIP_1) | instid1(VALU_DEP_2)
	v_and_b32_e32 v12, 0x7f800000, v14
	v_lshrrev_b32_e32 v16, 24, v14
	v_cmp_ne_u64_e32 vcc_lo, 0x7f800000, v[12:13]
	s_delay_alu instid0(VALU_DEP_2) | instskip(SKIP_1) | instid1(SALU_CYCLE_1)
	v_or_b32_e32 v12, 0x7f, v16
	s_and_saveexec_b32 s0, vcc_lo
	s_xor_b32 s4, exec_lo, s0
	s_cbranch_execz .LBB7_100
; %bb.91:
	v_dual_mov_b32 v26, v9 :: v_dual_and_b32 v25, 0x7fffffff, v14
	s_mov_b32 s0, exec_lo
	s_delay_alu instid0(VALU_DEP_1)
	v_cmpx_gt_u64_e32 0x43700001, v[25:26]
	s_xor_b32 s5, exec_lo, s0
	s_cbranch_execz .LBB7_99
; %bb.92:
	s_mov_b32 s8, exec_lo
	v_mov_b32_e32 v12, 0
	v_mov_b32_e32 v13, 0
	v_cmpx_ne_u32_e32 0, v14
	s_cbranch_execz .LBB7_98
; %bb.93:
	v_bfe_u32 v17, v14, 23, 8
	v_dual_mov_b32 v13, 0 :: v_dual_and_b32 v14, 0x7fffff, v14
	s_delay_alu instid0(VALU_DEP_2) | instskip(SKIP_2) | instid1(VALU_DEP_3)
	v_sub_nc_u32_e64 v12, 0x78, v17 clamp
	v_cmp_eq_u32_e32 vcc_lo, 0, v17
	v_add_nc_u32_e32 v17, 0xffffff89, v17
	v_cndmask_b32_e64 v25, v12, 0x77, vcc_lo
	v_or_b32_e32 v12, 0x800000, v14
	s_delay_alu instid0(VALU_DEP_1) | instskip(SKIP_1) | instid1(VALU_DEP_2)
	v_dual_cndmask_b32 v12, v12, v14 :: v_dual_add_nc_u32 v15, 20, v25
	v_add_nc_u32_e32 v28, 19, v25
	v_lshlrev_b64 v[14:15], v15, -1
	v_mov_b32_e32 v15, v13
	s_delay_alu instid0(VALU_DEP_4) | instskip(NEXT) | instid1(VALU_DEP_4)
	v_lshrrev_b64 v[26:27], v25, v[12:13]
	v_lshlrev_b64 v[28:29], v28, 1
	s_delay_alu instid0(VALU_DEP_4) | instskip(NEXT) | instid1(VALU_DEP_1)
	v_not_b32_e32 v14, v14
	v_and_b32_e32 v14, v12, v14
	s_delay_alu instid0(VALU_DEP_4) | instskip(NEXT) | instid1(VALU_DEP_2)
	v_and_b32_e32 v12, 0x100000, v26
	v_cmp_eq_u64_e64 s0, v[14:15], v[28:29]
	s_delay_alu instid0(VALU_DEP_2) | instskip(SKIP_2) | instid1(VALU_DEP_3)
	v_cmp_eq_u64_e64 s1, 0, v[12:13]
	v_cndmask_b32_e64 v12, v17, 0xffffff8a, vcc_lo
	v_lshrrev_b32_e32 v14, 23, v26
	s_and_b32 vcc_lo, s1, s0
	s_delay_alu instid0(VALU_DEP_1) | instskip(SKIP_2) | instid1(VALU_DEP_2)
	v_add3_u32 v17, v12, v25, v14
	v_subrev_co_ci_u32_e32 v15, vcc_lo, 0, v26, vcc_lo
	s_mov_b32 s0, exec_lo
	v_add_nc_u32_e32 v25, -1, v17
	s_delay_alu instid0(VALU_DEP_2) | instskip(NEXT) | instid1(VALU_DEP_1)
	v_and_b32_e32 v12, 0xfffff, v15
	v_add_co_u32 v14, vcc_lo, v12, v26
	v_add_co_ci_u32_e32 v15, vcc_lo, 0, v27, vcc_lo
                                        ; implicit-def: $vgpr12
	s_delay_alu instid0(VALU_DEP_4)
	v_cmpx_ne_u32_e32 0, v25
	s_xor_b32 s0, exec_lo, s0
; %bb.94:
	s_delay_alu instid0(VALU_DEP_3) | instskip(SKIP_1) | instid1(VALU_DEP_2)
	v_and_b32_e32 v12, 0x1000000, v14
	v_bfe_u32 v26, v14, 24, 1
	v_cmp_eq_u64_e32 vcc_lo, 0, v[12:13]
	s_delay_alu instid0(VALU_DEP_2)
	v_lshrrev_b64 v[14:15], v26, v[14:15]
	v_cndmask_b32_e32 v12, v17, v25, vcc_lo
; %bb.95:
	s_and_not1_saveexec_b32 s0, s0
; %bb.96:
	s_delay_alu instid0(VALU_DEP_2)
	v_bfe_u32 v12, v14, 23, 1
; %bb.97:
	s_or_b32 exec_lo, exec_lo, s0
	s_delay_alu instid0(VALU_DEP_3) | instskip(NEXT) | instid1(VALU_DEP_2)
	v_lshrrev_b64 v[13:14], 20, v[14:15]
	v_cmp_gt_i32_e32 vcc_lo, 16, v12
	v_and_b32_e32 v15, 0x80, v16
	v_min_i32_e32 v16, 15, v12
	v_cmp_eq_u32_e64 s0, 0, v12
	v_dual_cndmask_b32 v14, 0, v14 :: v_dual_cndmask_b32 v13, 7, v13
	s_delay_alu instid0(VALU_DEP_3) | instskip(NEXT) | instid1(VALU_DEP_2)
	v_lshl_or_b32 v15, v16, 3, v15
	v_cmp_eq_u64_e32 vcc_lo, 0, v[13:14]
	s_delay_alu instid0(VALU_DEP_2)
	v_and_or_b32 v12, v13, 7, v15
	s_and_b32 s0, s0, vcc_lo
	s_delay_alu instid0(VALU_DEP_1) | instid1(SALU_CYCLE_1)
	v_cndmask_b32_e64 v12, v12, 0, s0
.LBB7_98:
	s_or_b32 exec_lo, exec_lo, s8
.LBB7_99:
	s_and_not1_saveexec_b32 s0, s5
	s_delay_alu instid0(SALU_CYCLE_1)
	s_or_b32 exec_lo, exec_lo, s0
.LBB7_100:
	s_and_not1_saveexec_b32 s0, s4
	s_delay_alu instid0(SALU_CYCLE_1) | instskip(SKIP_3) | instid1(VALU_DEP_2)
	s_or_b32 exec_lo, exec_lo, s0
	v_dual_mov_b32 v15, 0 :: v_dual_and_b32 v4, 0xffff0000, v4
	v_and_b32_e32 v0, 0xffff0000, v0
	s_mov_b32 s0, 0x43600000
	v_mul_f32_e32 v4, v23, v4
	s_delay_alu instid0(VALU_DEP_1) | instskip(NEXT) | instid1(VALU_DEP_1)
	v_fmac_f32_e32 v4, v24, v0
	v_mul_f32_e32 v0, v20, v4
	s_delay_alu instid0(VALU_DEP_1) | instskip(SKIP_1) | instid1(VALU_DEP_1)
	v_minmax_f32 v4, v0, s0, 0xc3600000
	s_mov_b32 s0, exec_lo
	v_lshrrev_b32_e32 v0, 24, v4
	v_and_b32_e32 v14, 0x7f800000, v4
	s_delay_alu instid0(VALU_DEP_2) | instskip(NEXT) | instid1(VALU_DEP_2)
	v_or_b32_e32 v13, 0x7f, v0
	v_cmpx_ne_u64_e32 0x7f800000, v[14:15]
	s_xor_b32 s4, exec_lo, s0
	s_cbranch_execz .LBB7_110
; %bb.101:
	v_and_b32_e32 v14, 0x7fffffff, v4
	s_mov_b32 s0, exec_lo
	s_delay_alu instid0(VALU_DEP_1)
	v_cmpx_gt_u64_e32 0x43700001, v[14:15]
	s_xor_b32 s5, exec_lo, s0
	s_cbranch_execz .LBB7_109
; %bb.102:
	s_mov_b32 s8, exec_lo
	v_mov_b32_e32 v13, 0
	v_mov_b32_e32 v14, 0
	v_cmpx_ne_u32_e32 0, v4
	s_cbranch_execz .LBB7_108
; %bb.103:
	v_bfe_u32 v17, v4, 23, 8
	v_and_b32_e32 v4, 0x7fffff, v4
	v_mov_b32_e32 v14, 0
	s_delay_alu instid0(VALU_DEP_3) | instskip(SKIP_1) | instid1(VALU_DEP_2)
	v_sub_nc_u32_e64 v13, 0x78, v17 clamp
	v_cmp_eq_u32_e32 vcc_lo, 0, v17
	v_cndmask_b32_e64 v25, v13, 0x77, vcc_lo
	v_or_b32_e32 v13, 0x800000, v4
	s_delay_alu instid0(VALU_DEP_2) | instskip(NEXT) | instid1(VALU_DEP_2)
	v_add_nc_u32_e32 v15, 20, v25
	v_dual_cndmask_b32 v13, v13, v4 :: v_dual_add_nc_u32 v4, 19, v25
	s_delay_alu instid0(VALU_DEP_2) | instskip(NEXT) | instid1(VALU_DEP_2)
	v_lshlrev_b64 v[15:16], v15, -1
	v_lshrrev_b64 v[26:27], v25, v[13:14]
	s_delay_alu instid0(VALU_DEP_3) | instskip(SKIP_1) | instid1(VALU_DEP_4)
	v_lshlrev_b64 v[28:29], v4, 1
	v_add_nc_u32_e32 v4, 0xffffff89, v17
	v_not_b32_e32 v15, v15
	v_mov_b32_e32 v16, v14
	s_delay_alu instid0(VALU_DEP_3) | instskip(NEXT) | instid1(VALU_DEP_3)
	v_cndmask_b32_e64 v4, v4, 0xffffff8a, vcc_lo
	v_and_b32_e32 v15, v13, v15
	v_and_b32_e32 v13, 0x100000, v26
	s_delay_alu instid0(VALU_DEP_2) | instskip(NEXT) | instid1(VALU_DEP_2)
	v_cmp_eq_u64_e64 s0, v[15:16], v[28:29]
	v_cmp_eq_u64_e64 s1, 0, v[13:14]
	v_lshrrev_b32_e32 v13, 23, v26
	s_delay_alu instid0(VALU_DEP_1) | instskip(NEXT) | instid1(VALU_DEP_3)
	v_add3_u32 v17, v4, v25, v13
	s_and_b32 vcc_lo, s1, s0
	s_mov_b32 s0, exec_lo
	v_subrev_co_ci_u32_e32 v15, vcc_lo, 0, v26, vcc_lo
	s_delay_alu instid0(VALU_DEP_2) | instskip(NEXT) | instid1(VALU_DEP_2)
	v_add_nc_u32_e32 v25, -1, v17
	v_and_b32_e32 v4, 0xfffff, v15
	s_delay_alu instid0(VALU_DEP_1) | instskip(SKIP_1) | instid1(VALU_DEP_4)
	v_add_co_u32 v15, vcc_lo, v4, v26
	v_add_co_ci_u32_e32 v16, vcc_lo, 0, v27, vcc_lo
                                        ; implicit-def: $vgpr4
	v_cmpx_ne_u32_e32 0, v25
	s_xor_b32 s0, exec_lo, s0
; %bb.104:
	s_delay_alu instid0(VALU_DEP_3) | instskip(SKIP_1) | instid1(VALU_DEP_2)
	v_and_b32_e32 v13, 0x1000000, v15
	v_bfe_u32 v4, v15, 24, 1
	v_cmp_eq_u64_e32 vcc_lo, 0, v[13:14]
	s_delay_alu instid0(VALU_DEP_2)
	v_lshrrev_b64 v[15:16], v4, v[15:16]
	v_cndmask_b32_e32 v4, v17, v25, vcc_lo
; %bb.105:
	s_and_not1_saveexec_b32 s0, s0
; %bb.106:
	s_delay_alu instid0(VALU_DEP_2)
	v_bfe_u32 v4, v15, 23, 1
; %bb.107:
	s_or_b32 exec_lo, exec_lo, s0
	s_delay_alu instid0(VALU_DEP_3) | instskip(NEXT) | instid1(VALU_DEP_2)
	v_lshrrev_b64 v[13:14], 20, v[15:16]
	v_cmp_gt_i32_e32 vcc_lo, 16, v4
	v_and_b32_e32 v0, 0x80, v0
	v_min_i32_e32 v15, 15, v4
	v_cmp_eq_u32_e64 s0, 0, v4
	v_dual_cndmask_b32 v13, 7, v13 :: v_dual_cndmask_b32 v14, 0, v14
	s_delay_alu instid0(VALU_DEP_3) | instskip(NEXT) | instid1(VALU_DEP_2)
	v_lshl_or_b32 v0, v15, 3, v0
	v_cmp_eq_u64_e32 vcc_lo, 0, v[13:14]
	s_delay_alu instid0(VALU_DEP_2)
	v_and_or_b32 v0, v13, 7, v0
	s_and_b32 s0, s0, vcc_lo
	s_delay_alu instid0(VALU_DEP_1) | instid1(SALU_CYCLE_1)
	v_cndmask_b32_e64 v13, v0, 0, s0
.LBB7_108:
	s_or_b32 exec_lo, exec_lo, s8
.LBB7_109:
	s_and_not1_saveexec_b32 s0, s5
	s_delay_alu instid0(SALU_CYCLE_1)
	s_or_b32 exec_lo, exec_lo, s0
.LBB7_110:
	s_and_not1_saveexec_b32 s0, s4
	s_delay_alu instid0(SALU_CYCLE_1) | instskip(SKIP_3) | instid1(VALU_DEP_2)
	s_or_b32 exec_lo, exec_lo, s0
	v_lshlrev_b32_e32 v0, 16, v5
	v_lshlrev_b32_e32 v4, 16, v1
	s_mov_b32 s0, 0x43600000
	v_mul_f32_e32 v0, v23, v0
	s_delay_alu instid0(VALU_DEP_1) | instskip(NEXT) | instid1(VALU_DEP_1)
	v_fmac_f32_e32 v0, v24, v4
	v_mul_f32_e32 v0, v20, v0
	s_delay_alu instid0(VALU_DEP_1) | instskip(SKIP_2) | instid1(VALU_DEP_2)
	v_minmax_f32 v4, v0, s0, 0xc3600000
	v_mov_b32_e32 v16, 0
	s_mov_b32 s0, exec_lo
	v_and_b32_e32 v15, 0x7f800000, v4
	v_lshrrev_b32_e32 v0, 24, v4
	s_delay_alu instid0(VALU_DEP_1) | instskip(NEXT) | instid1(VALU_DEP_3)
	v_or_b32_e32 v14, 0x7f, v0
	v_cmpx_ne_u64_e32 0x7f800000, v[15:16]
	s_xor_b32 s4, exec_lo, s0
	s_cbranch_execz .LBB7_120
; %bb.111:
	v_and_b32_e32 v15, 0x7fffffff, v4
	s_mov_b32 s0, exec_lo
	s_delay_alu instid0(VALU_DEP_1)
	v_cmpx_gt_u64_e32 0x43700001, v[15:16]
	s_xor_b32 s5, exec_lo, s0
	s_cbranch_execz .LBB7_119
; %bb.112:
	s_mov_b32 s8, exec_lo
	v_mov_b32_e32 v14, 0
	v_mov_b32_e32 v15, 0
	v_cmpx_ne_u32_e32 0, v4
	s_cbranch_execz .LBB7_118
; %bb.113:
	v_bfe_u32 v29, v4, 23, 8
	v_dual_mov_b32 v15, 0 :: v_dual_and_b32 v4, 0x7fffff, v4
	s_delay_alu instid0(VALU_DEP_2) | instskip(SKIP_1) | instid1(VALU_DEP_2)
	v_sub_nc_u32_e64 v14, 0x78, v29 clamp
	v_cmp_eq_u32_e32 vcc_lo, 0, v29
	v_cndmask_b32_e64 v30, v14, 0x77, vcc_lo
	s_delay_alu instid0(VALU_DEP_4) | instskip(NEXT) | instid1(VALU_DEP_2)
	v_or_b32_e32 v14, 0x800000, v4
	v_add_nc_u32_e32 v16, 20, v30
	s_delay_alu instid0(VALU_DEP_2) | instskip(SKIP_1) | instid1(VALU_DEP_3)
	v_cndmask_b32_e32 v14, v14, v4, vcc_lo
	v_add_nc_u32_e32 v4, 19, v30
	v_lshlrev_b64 v[16:17], v16, -1
	v_mov_b32_e32 v17, v15
	s_delay_alu instid0(VALU_DEP_4) | instskip(NEXT) | instid1(VALU_DEP_4)
	v_lshrrev_b64 v[27:28], v30, v[14:15]
	v_lshlrev_b64 v[25:26], v4, 1
	v_add_nc_u32_e32 v4, 0xffffff89, v29
	v_not_b32_e32 v16, v16
	s_delay_alu instid0(VALU_DEP_2) | instskip(NEXT) | instid1(VALU_DEP_2)
	v_cndmask_b32_e64 v4, v4, 0xffffff8a, vcc_lo
	v_and_b32_e32 v16, v14, v16
	v_and_b32_e32 v14, 0x100000, v27
	s_delay_alu instid0(VALU_DEP_2) | instskip(NEXT) | instid1(VALU_DEP_2)
	v_cmp_eq_u64_e64 s0, v[16:17], v[25:26]
	v_cmp_eq_u64_e64 s1, 0, v[14:15]
	v_lshrrev_b32_e32 v14, 23, v27
	s_delay_alu instid0(VALU_DEP_1) | instskip(NEXT) | instid1(VALU_DEP_3)
	v_add3_u32 v25, v4, v30, v14
	s_and_b32 vcc_lo, s1, s0
	s_mov_b32 s0, exec_lo
	v_subrev_co_ci_u32_e32 v16, vcc_lo, 0, v27, vcc_lo
	s_delay_alu instid0(VALU_DEP_2) | instskip(NEXT) | instid1(VALU_DEP_2)
	v_add_nc_u32_e32 v26, -1, v25
	v_and_b32_e32 v4, 0xfffff, v16
	s_delay_alu instid0(VALU_DEP_1) | instskip(SKIP_1) | instid1(VALU_DEP_4)
	v_add_co_u32 v16, vcc_lo, v4, v27
	v_add_co_ci_u32_e32 v17, vcc_lo, 0, v28, vcc_lo
                                        ; implicit-def: $vgpr4
	v_cmpx_ne_u32_e32 0, v26
	s_xor_b32 s0, exec_lo, s0
; %bb.114:
	s_delay_alu instid0(VALU_DEP_3) | instskip(SKIP_1) | instid1(VALU_DEP_2)
	v_and_b32_e32 v14, 0x1000000, v16
	v_bfe_u32 v4, v16, 24, 1
	v_cmp_eq_u64_e32 vcc_lo, 0, v[14:15]
	s_delay_alu instid0(VALU_DEP_2)
	v_lshrrev_b64 v[16:17], v4, v[16:17]
	v_cndmask_b32_e32 v4, v25, v26, vcc_lo
; %bb.115:
	s_and_not1_saveexec_b32 s0, s0
; %bb.116:
	s_delay_alu instid0(VALU_DEP_2)
	v_bfe_u32 v4, v16, 23, 1
; %bb.117:
	s_or_b32 exec_lo, exec_lo, s0
	s_delay_alu instid0(VALU_DEP_3) | instskip(NEXT) | instid1(VALU_DEP_2)
	v_lshrrev_b64 v[14:15], 20, v[16:17]
	v_cmp_gt_i32_e32 vcc_lo, 16, v4
	v_and_b32_e32 v0, 0x80, v0
	v_min_i32_e32 v16, 15, v4
	v_cmp_eq_u32_e64 s0, 0, v4
	v_dual_cndmask_b32 v15, 0, v15 :: v_dual_cndmask_b32 v14, 7, v14
	s_delay_alu instid0(VALU_DEP_3) | instskip(NEXT) | instid1(VALU_DEP_2)
	v_lshl_or_b32 v0, v16, 3, v0
	v_cmp_eq_u64_e32 vcc_lo, 0, v[14:15]
	s_delay_alu instid0(VALU_DEP_2)
	v_and_or_b32 v0, v14, 7, v0
	s_and_b32 s0, s0, vcc_lo
	s_delay_alu instid0(VALU_DEP_1) | instid1(SALU_CYCLE_1)
	v_cndmask_b32_e64 v14, v0, 0, s0
.LBB7_118:
	s_or_b32 exec_lo, exec_lo, s8
.LBB7_119:
	s_and_not1_saveexec_b32 s0, s5
	s_delay_alu instid0(SALU_CYCLE_1)
	s_or_b32 exec_lo, exec_lo, s0
.LBB7_120:
	s_and_not1_saveexec_b32 s0, s4
	s_delay_alu instid0(SALU_CYCLE_1) | instskip(SKIP_3) | instid1(VALU_DEP_2)
	s_or_b32 exec_lo, exec_lo, s0
	v_dual_mov_b32 v5, 0 :: v_dual_and_b32 v0, 0xffff0000, v5
	v_and_b32_e32 v1, 0xffff0000, v1
	s_mov_b32 s0, 0x43600000
	v_mul_f32_e32 v0, v23, v0
	s_delay_alu instid0(VALU_DEP_1) | instskip(NEXT) | instid1(VALU_DEP_1)
	v_fmac_f32_e32 v0, v24, v1
	v_mul_f32_e32 v0, v20, v0
	s_delay_alu instid0(VALU_DEP_1) | instskip(SKIP_1) | instid1(VALU_DEP_1)
	v_minmax_f32 v16, v0, s0, 0xc3600000
	s_mov_b32 s0, exec_lo
	v_lshrrev_b32_e32 v15, 24, v16
	v_and_b32_e32 v4, 0x7f800000, v16
	s_delay_alu instid0(VALU_DEP_2) | instskip(NEXT) | instid1(VALU_DEP_2)
	v_or_b32_e32 v0, 0x7f, v15
	v_cmpx_ne_u64_e32 0x7f800000, v[4:5]
	s_xor_b32 s4, exec_lo, s0
	s_cbranch_execz .LBB7_130
; %bb.121:
	v_and_b32_e32 v4, 0x7fffffff, v16
	s_mov_b32 s0, exec_lo
	s_delay_alu instid0(VALU_DEP_1)
	v_cmpx_gt_u64_e32 0x43700001, v[4:5]
	s_xor_b32 s5, exec_lo, s0
	s_cbranch_execz .LBB7_129
; %bb.122:
	s_mov_b32 s8, exec_lo
	v_mov_b32_e32 v0, 0
	v_mov_b32_e32 v1, 0
	v_cmpx_ne_u32_e32 0, v16
	s_cbranch_execz .LBB7_128
; %bb.123:
	v_bfe_u32 v27, v16, 23, 8
	v_dual_mov_b32 v1, 0 :: v_dual_and_b32 v4, 0x7fffff, v16
	s_delay_alu instid0(VALU_DEP_2) | instskip(SKIP_2) | instid1(VALU_DEP_3)
	v_sub_nc_u32_e64 v0, 0x78, v27 clamp
	v_cmp_eq_u32_e32 vcc_lo, 0, v27
	v_add_nc_u32_e32 v27, 0xffffff89, v27
	v_cndmask_b32_e64 v28, v0, 0x77, vcc_lo
	v_or_b32_e32 v0, 0x800000, v4
	s_delay_alu instid0(VALU_DEP_2) | instskip(NEXT) | instid1(VALU_DEP_2)
	v_add_nc_u32_e32 v5, 20, v28
	v_cndmask_b32_e32 v0, v0, v4, vcc_lo
	v_add_nc_u32_e32 v16, 19, v28
	s_delay_alu instid0(VALU_DEP_3) | instskip(SKIP_1) | instid1(VALU_DEP_4)
	v_lshlrev_b64 v[4:5], v5, -1
	v_mov_b32_e32 v5, v1
	v_lshrrev_b64 v[25:26], v28, v[0:1]
	s_delay_alu instid0(VALU_DEP_4) | instskip(NEXT) | instid1(VALU_DEP_4)
	v_lshlrev_b64 v[16:17], v16, 1
	v_not_b32_e32 v4, v4
	s_delay_alu instid0(VALU_DEP_1) | instskip(NEXT) | instid1(VALU_DEP_4)
	v_and_b32_e32 v4, v0, v4
	v_and_b32_e32 v0, 0x100000, v25
	s_delay_alu instid0(VALU_DEP_2) | instskip(NEXT) | instid1(VALU_DEP_2)
	v_cmp_eq_u64_e64 s0, v[4:5], v[16:17]
	v_cmp_eq_u64_e64 s1, 0, v[0:1]
	v_cndmask_b32_e64 v0, v27, 0xffffff8a, vcc_lo
	v_lshrrev_b32_e32 v4, 23, v25
	s_delay_alu instid0(VALU_DEP_3) | instskip(NEXT) | instid1(VALU_DEP_1)
	s_and_b32 vcc_lo, s1, s0
	v_add3_u32 v16, v0, v28, v4
	v_subrev_co_ci_u32_e32 v5, vcc_lo, 0, v25, vcc_lo
	s_mov_b32 s0, exec_lo
	s_delay_alu instid0(VALU_DEP_2) | instskip(NEXT) | instid1(VALU_DEP_2)
	v_add_nc_u32_e32 v17, -1, v16
	v_and_b32_e32 v0, 0xfffff, v5
	s_delay_alu instid0(VALU_DEP_1) | instskip(SKIP_1) | instid1(VALU_DEP_4)
	v_add_co_u32 v4, vcc_lo, v0, v25
	v_add_co_ci_u32_e32 v5, vcc_lo, 0, v26, vcc_lo
                                        ; implicit-def: $vgpr0
	v_cmpx_ne_u32_e32 0, v17
	s_xor_b32 s0, exec_lo, s0
; %bb.124:
	s_delay_alu instid0(VALU_DEP_3) | instskip(SKIP_1) | instid1(VALU_DEP_2)
	v_and_b32_e32 v0, 0x1000000, v4
	v_bfe_u32 v25, v4, 24, 1
	v_cmp_eq_u64_e32 vcc_lo, 0, v[0:1]
	s_delay_alu instid0(VALU_DEP_2)
	v_lshrrev_b64 v[4:5], v25, v[4:5]
	v_cndmask_b32_e32 v0, v16, v17, vcc_lo
; %bb.125:
	s_and_not1_saveexec_b32 s0, s0
; %bb.126:
	s_delay_alu instid0(VALU_DEP_2)
	v_bfe_u32 v0, v4, 23, 1
; %bb.127:
	s_or_b32 exec_lo, exec_lo, s0
	s_delay_alu instid0(VALU_DEP_3) | instskip(NEXT) | instid1(VALU_DEP_2)
	v_lshrrev_b64 v[4:5], 20, v[4:5]
	v_cmp_gt_i32_e32 vcc_lo, 16, v0
	v_and_b32_e32 v1, 0x80, v15
	v_min_i32_e32 v15, 15, v0
	v_cmp_eq_u32_e64 s0, 0, v0
	v_dual_cndmask_b32 v4, 7, v4 :: v_dual_cndmask_b32 v5, 0, v5
	s_delay_alu instid0(VALU_DEP_3) | instskip(NEXT) | instid1(VALU_DEP_2)
	v_lshl_or_b32 v1, v15, 3, v1
	v_cmp_eq_u64_e32 vcc_lo, 0, v[4:5]
	s_delay_alu instid0(VALU_DEP_2)
	v_and_or_b32 v0, v4, 7, v1
	s_and_b32 s0, s0, vcc_lo
	s_delay_alu instid0(VALU_DEP_1) | instid1(SALU_CYCLE_1)
	v_cndmask_b32_e64 v0, v0, 0, s0
.LBB7_128:
	s_or_b32 exec_lo, exec_lo, s8
.LBB7_129:
	s_and_not1_saveexec_b32 s0, s5
	s_delay_alu instid0(SALU_CYCLE_1)
	s_or_b32 exec_lo, exec_lo, s0
.LBB7_130:
	s_and_not1_saveexec_b32 s0, s4
	s_delay_alu instid0(SALU_CYCLE_1) | instskip(SKIP_3) | instid1(VALU_DEP_2)
	s_or_b32 exec_lo, exec_lo, s0
	v_dual_mov_b32 v16, 0 :: v_dual_lshlrev_b32 v1, 16, v6
	v_lshlrev_b32_e32 v4, 16, v2
	s_mov_b32 s0, 0x43600000
	v_mul_f32_e32 v1, v23, v1
	s_delay_alu instid0(VALU_DEP_1) | instskip(NEXT) | instid1(VALU_DEP_1)
	v_fmac_f32_e32 v1, v24, v4
	v_mul_f32_e32 v1, v20, v1
	s_delay_alu instid0(VALU_DEP_1) | instskip(SKIP_1) | instid1(VALU_DEP_1)
	v_minmax_f32 v17, v1, s0, 0xc3600000
	s_mov_b32 s0, exec_lo
	v_lshrrev_b32_e32 v1, 24, v17
	v_and_b32_e32 v15, 0x7f800000, v17
	s_delay_alu instid0(VALU_DEP_2) | instskip(NEXT) | instid1(VALU_DEP_2)
	v_or_b32_e32 v4, 0x7f, v1
	v_cmpx_ne_u64_e32 0x7f800000, v[15:16]
	s_xor_b32 s4, exec_lo, s0
	s_cbranch_execz .LBB7_140
; %bb.131:
	v_and_b32_e32 v15, 0x7fffffff, v17
	s_mov_b32 s0, exec_lo
	s_delay_alu instid0(VALU_DEP_1)
	v_cmpx_gt_u64_e32 0x43700001, v[15:16]
	s_xor_b32 s5, exec_lo, s0
	s_cbranch_execz .LBB7_139
; %bb.132:
	s_mov_b32 s8, exec_lo
	v_mov_b32_e32 v4, 0
	v_mov_b32_e32 v5, 0
	v_cmpx_ne_u32_e32 0, v17
	s_cbranch_execz .LBB7_138
; %bb.133:
	v_bfe_u32 v25, v17, 23, 8
	s_delay_alu instid0(VALU_DEP_1)
	v_sub_nc_u32_e64 v4, 0x78, v25 clamp
	v_cmp_eq_u32_e32 vcc_lo, 0, v25
	v_mov_b32_e32 v5, 0
	v_and_b32_e32 v15, 0x7fffff, v17
	v_add_nc_u32_e32 v25, 0xffffff89, v25
	v_cndmask_b32_e64 v17, v4, 0x77, vcc_lo
	s_delay_alu instid0(VALU_DEP_3) | instskip(NEXT) | instid1(VALU_DEP_2)
	v_or_b32_e32 v4, 0x800000, v15
	v_add_nc_u32_e32 v16, 20, v17
	v_add_nc_u32_e32 v28, 19, v17
	s_delay_alu instid0(VALU_DEP_3) | instskip(NEXT) | instid1(VALU_DEP_3)
	v_cndmask_b32_e32 v4, v4, v15, vcc_lo
	v_lshlrev_b64 v[15:16], v16, -1
	v_mov_b32_e32 v16, v5
	s_delay_alu instid0(VALU_DEP_3) | instskip(SKIP_1) | instid1(VALU_DEP_4)
	v_lshrrev_b64 v[26:27], v17, v[4:5]
	v_lshlrev_b64 v[28:29], v28, 1
	v_not_b32_e32 v15, v15
	s_delay_alu instid0(VALU_DEP_1) | instskip(NEXT) | instid1(VALU_DEP_4)
	v_and_b32_e32 v15, v4, v15
	v_and_b32_e32 v4, 0x100000, v26
	s_delay_alu instid0(VALU_DEP_2) | instskip(NEXT) | instid1(VALU_DEP_2)
	v_cmp_eq_u64_e64 s0, v[15:16], v[28:29]
	v_cmp_eq_u64_e64 s1, 0, v[4:5]
	v_cndmask_b32_e64 v4, v25, 0xffffff8a, vcc_lo
	v_lshrrev_b32_e32 v15, 23, v26
	s_delay_alu instid0(VALU_DEP_3) | instskip(NEXT) | instid1(VALU_DEP_1)
	s_and_b32 vcc_lo, s1, s0
	v_add3_u32 v17, v4, v17, v15
	v_subrev_co_ci_u32_e32 v16, vcc_lo, 0, v26, vcc_lo
	s_mov_b32 s0, exec_lo
	s_delay_alu instid0(VALU_DEP_2) | instskip(NEXT) | instid1(VALU_DEP_2)
	v_add_nc_u32_e32 v25, -1, v17
	v_and_b32_e32 v4, 0xfffff, v16
	s_delay_alu instid0(VALU_DEP_1) | instskip(SKIP_1) | instid1(VALU_DEP_4)
	v_add_co_u32 v15, vcc_lo, v4, v26
	v_add_co_ci_u32_e32 v16, vcc_lo, 0, v27, vcc_lo
                                        ; implicit-def: $vgpr4
	v_cmpx_ne_u32_e32 0, v25
	s_xor_b32 s0, exec_lo, s0
; %bb.134:
	s_delay_alu instid0(VALU_DEP_3) | instskip(SKIP_1) | instid1(VALU_DEP_2)
	v_and_b32_e32 v4, 0x1000000, v15
	v_bfe_u32 v26, v15, 24, 1
	v_cmp_eq_u64_e32 vcc_lo, 0, v[4:5]
	s_delay_alu instid0(VALU_DEP_2)
	v_lshrrev_b64 v[15:16], v26, v[15:16]
	v_cndmask_b32_e32 v4, v17, v25, vcc_lo
; %bb.135:
	s_and_not1_saveexec_b32 s0, s0
; %bb.136:
	s_delay_alu instid0(VALU_DEP_2)
	v_bfe_u32 v4, v15, 23, 1
; %bb.137:
	s_or_b32 exec_lo, exec_lo, s0
	s_delay_alu instid0(VALU_DEP_3) | instskip(NEXT) | instid1(VALU_DEP_2)
	v_lshrrev_b64 v[15:16], 20, v[15:16]
	v_cmp_gt_i32_e32 vcc_lo, 16, v4
	v_and_b32_e32 v1, 0x80, v1
	v_min_i32_e32 v5, 15, v4
	v_cmp_eq_u32_e64 s0, 0, v4
	v_dual_cndmask_b32 v16, 0, v16 :: v_dual_cndmask_b32 v15, 7, v15
	s_delay_alu instid0(VALU_DEP_3) | instskip(NEXT) | instid1(VALU_DEP_2)
	v_lshl_or_b32 v1, v5, 3, v1
	v_cmp_eq_u64_e32 vcc_lo, 0, v[15:16]
	s_delay_alu instid0(VALU_DEP_2)
	v_and_or_b32 v1, v15, 7, v1
	s_and_b32 s0, s0, vcc_lo
	s_delay_alu instid0(VALU_DEP_1) | instid1(SALU_CYCLE_1)
	v_cndmask_b32_e64 v4, v1, 0, s0
.LBB7_138:
	s_or_b32 exec_lo, exec_lo, s8
.LBB7_139:
	s_and_not1_saveexec_b32 s0, s5
	s_delay_alu instid0(SALU_CYCLE_1)
	s_or_b32 exec_lo, exec_lo, s0
.LBB7_140:
	s_and_not1_saveexec_b32 s0, s4
	s_delay_alu instid0(SALU_CYCLE_1) | instskip(SKIP_3) | instid1(VALU_DEP_2)
	s_or_b32 exec_lo, exec_lo, s0
	v_dual_mov_b32 v6, 0 :: v_dual_and_b32 v1, 0xffff0000, v6
	v_and_b32_e32 v2, 0xffff0000, v2
	s_mov_b32 s0, 0x43600000
	v_mul_f32_e32 v1, v23, v1
	s_delay_alu instid0(VALU_DEP_1) | instskip(NEXT) | instid1(VALU_DEP_1)
	v_fmac_f32_e32 v1, v24, v2
	v_mul_f32_e32 v1, v20, v1
	s_delay_alu instid0(VALU_DEP_1) | instskip(SKIP_1) | instid1(VALU_DEP_1)
	v_minmax_f32 v16, v1, s0, 0xc3600000
	s_mov_b32 s0, exec_lo
	v_lshrrev_b32_e32 v15, 24, v16
	v_and_b32_e32 v5, 0x7f800000, v16
	s_delay_alu instid0(VALU_DEP_2) | instskip(NEXT) | instid1(VALU_DEP_2)
	v_or_b32_e32 v1, 0x7f, v15
	v_cmpx_ne_u64_e32 0x7f800000, v[5:6]
	s_xor_b32 s4, exec_lo, s0
	s_cbranch_execz .LBB7_150
; %bb.141:
	v_and_b32_e32 v5, 0x7fffffff, v16
	s_mov_b32 s0, exec_lo
	s_delay_alu instid0(VALU_DEP_1)
	v_cmpx_gt_u64_e32 0x43700001, v[5:6]
	s_xor_b32 s5, exec_lo, s0
	s_cbranch_execz .LBB7_149
; %bb.142:
	s_mov_b32 s8, exec_lo
	v_mov_b32_e32 v1, 0
	v_mov_b32_e32 v2, 0
	v_cmpx_ne_u32_e32 0, v16
	s_cbranch_execz .LBB7_148
; %bb.143:
	v_bfe_u32 v27, v16, 23, 8
	v_dual_mov_b32 v2, 0 :: v_dual_and_b32 v5, 0x7fffff, v16
	s_delay_alu instid0(VALU_DEP_2) | instskip(SKIP_2) | instid1(VALU_DEP_3)
	v_sub_nc_u32_e64 v1, 0x78, v27 clamp
	v_cmp_eq_u32_e32 vcc_lo, 0, v27
	v_add_nc_u32_e32 v27, 0xffffff89, v27
	v_cndmask_b32_e64 v28, v1, 0x77, vcc_lo
	v_or_b32_e32 v1, 0x800000, v5
	s_delay_alu instid0(VALU_DEP_1) | instskip(SKIP_1) | instid1(VALU_DEP_2)
	v_dual_cndmask_b32 v1, v1, v5 :: v_dual_add_nc_u32 v6, 20, v28
	v_add_nc_u32_e32 v16, 19, v28
	v_lshlrev_b64 v[5:6], v6, -1
	s_delay_alu instid0(VALU_DEP_3) | instskip(NEXT) | instid1(VALU_DEP_3)
	v_lshrrev_b64 v[25:26], v28, v[1:2]
	v_lshlrev_b64 v[16:17], v16, 1
	s_delay_alu instid0(VALU_DEP_3) | instskip(NEXT) | instid1(VALU_DEP_1)
	v_not_b32_e32 v5, v5
	v_dual_mov_b32 v6, v2 :: v_dual_and_b32 v5, v1, v5
	s_delay_alu instid0(VALU_DEP_4) | instskip(NEXT) | instid1(VALU_DEP_2)
	v_and_b32_e32 v1, 0x100000, v25
	v_cmp_eq_u64_e64 s0, v[5:6], v[16:17]
	s_delay_alu instid0(VALU_DEP_2) | instskip(SKIP_2) | instid1(VALU_DEP_3)
	v_cmp_eq_u64_e64 s1, 0, v[1:2]
	v_cndmask_b32_e64 v1, v27, 0xffffff8a, vcc_lo
	v_lshrrev_b32_e32 v5, 23, v25
	s_and_b32 vcc_lo, s1, s0
	s_delay_alu instid0(VALU_DEP_1) | instskip(SKIP_2) | instid1(VALU_DEP_2)
	v_add3_u32 v16, v1, v28, v5
	v_subrev_co_ci_u32_e32 v6, vcc_lo, 0, v25, vcc_lo
	s_mov_b32 s0, exec_lo
	v_add_nc_u32_e32 v17, -1, v16
	s_delay_alu instid0(VALU_DEP_2) | instskip(NEXT) | instid1(VALU_DEP_1)
	v_and_b32_e32 v1, 0xfffff, v6
	v_add_co_u32 v5, vcc_lo, v1, v25
	v_add_co_ci_u32_e32 v6, vcc_lo, 0, v26, vcc_lo
                                        ; implicit-def: $vgpr1
	s_delay_alu instid0(VALU_DEP_4)
	v_cmpx_ne_u32_e32 0, v17
	s_xor_b32 s0, exec_lo, s0
; %bb.144:
	s_delay_alu instid0(VALU_DEP_3) | instskip(SKIP_1) | instid1(VALU_DEP_2)
	v_and_b32_e32 v1, 0x1000000, v5
	v_bfe_u32 v25, v5, 24, 1
	v_cmp_eq_u64_e32 vcc_lo, 0, v[1:2]
	s_delay_alu instid0(VALU_DEP_2)
	v_lshrrev_b64 v[5:6], v25, v[5:6]
	v_cndmask_b32_e32 v1, v16, v17, vcc_lo
; %bb.145:
	s_and_not1_saveexec_b32 s0, s0
; %bb.146:
	s_delay_alu instid0(VALU_DEP_2)
	v_bfe_u32 v1, v5, 23, 1
; %bb.147:
	s_or_b32 exec_lo, exec_lo, s0
	s_delay_alu instid0(VALU_DEP_3) | instskip(NEXT) | instid1(VALU_DEP_2)
	v_lshrrev_b64 v[5:6], 20, v[5:6]
	v_cmp_gt_i32_e32 vcc_lo, 16, v1
	v_and_b32_e32 v2, 0x80, v15
	v_min_i32_e32 v15, 15, v1
	v_cmp_eq_u32_e64 s0, 0, v1
	v_dual_cndmask_b32 v5, 7, v5 :: v_dual_cndmask_b32 v6, 0, v6
	s_delay_alu instid0(VALU_DEP_3) | instskip(NEXT) | instid1(VALU_DEP_2)
	v_lshl_or_b32 v2, v15, 3, v2
	v_cmp_eq_u64_e32 vcc_lo, 0, v[5:6]
	s_delay_alu instid0(VALU_DEP_2)
	v_and_or_b32 v1, v5, 7, v2
	s_and_b32 s0, s0, vcc_lo
	s_delay_alu instid0(VALU_DEP_1) | instid1(SALU_CYCLE_1)
	v_cndmask_b32_e64 v1, v1, 0, s0
.LBB7_148:
	s_or_b32 exec_lo, exec_lo, s8
.LBB7_149:
	s_and_not1_saveexec_b32 s0, s5
	s_delay_alu instid0(SALU_CYCLE_1)
	s_or_b32 exec_lo, exec_lo, s0
.LBB7_150:
	s_and_not1_saveexec_b32 s0, s4
	s_delay_alu instid0(SALU_CYCLE_1) | instskip(SKIP_4) | instid1(VALU_DEP_3)
	s_or_b32 exec_lo, exec_lo, s0
	v_lshlrev_b32_e32 v2, 16, v7
	v_lshlrev_b32_e32 v5, 16, v3
	s_mov_b32 s0, 0x43600000
	v_mov_b32_e32 v16, 0
	v_mul_f32_e32 v2, v23, v2
	s_delay_alu instid0(VALU_DEP_1) | instskip(NEXT) | instid1(VALU_DEP_1)
	v_fmac_f32_e32 v2, v24, v5
	v_mul_f32_e32 v2, v20, v2
	s_delay_alu instid0(VALU_DEP_1) | instskip(SKIP_1) | instid1(VALU_DEP_1)
	v_minmax_f32 v17, v2, s0, 0xc3600000
	s_mov_b32 s0, exec_lo
	v_and_b32_e32 v15, 0x7f800000, v17
	v_lshrrev_b32_e32 v2, 24, v17
	s_delay_alu instid0(VALU_DEP_1) | instskip(NEXT) | instid1(VALU_DEP_3)
	v_or_b32_e32 v5, 0x7f, v2
	v_cmpx_ne_u64_e32 0x7f800000, v[15:16]
	s_xor_b32 s4, exec_lo, s0
	s_cbranch_execz .LBB7_160
; %bb.151:
	v_and_b32_e32 v15, 0x7fffffff, v17
	s_mov_b32 s0, exec_lo
	s_delay_alu instid0(VALU_DEP_1)
	v_cmpx_gt_u64_e32 0x43700001, v[15:16]
	s_xor_b32 s5, exec_lo, s0
	s_cbranch_execz .LBB7_159
; %bb.152:
	s_mov_b32 s8, exec_lo
	v_mov_b32_e32 v5, 0
	v_mov_b32_e32 v6, 0
	v_cmpx_ne_u32_e32 0, v17
	s_cbranch_execz .LBB7_158
; %bb.153:
	v_bfe_u32 v25, v17, 23, 8
	v_dual_mov_b32 v6, 0 :: v_dual_and_b32 v15, 0x7fffff, v17
	s_delay_alu instid0(VALU_DEP_2) | instskip(SKIP_2) | instid1(VALU_DEP_3)
	v_sub_nc_u32_e64 v5, 0x78, v25 clamp
	v_cmp_eq_u32_e32 vcc_lo, 0, v25
	v_add_nc_u32_e32 v25, 0xffffff89, v25
	v_cndmask_b32_e64 v17, v5, 0x77, vcc_lo
	v_or_b32_e32 v5, 0x800000, v15
	s_delay_alu instid0(VALU_DEP_1) | instskip(SKIP_1) | instid1(VALU_DEP_2)
	v_dual_cndmask_b32 v5, v5, v15 :: v_dual_add_nc_u32 v16, 20, v17
	v_add_nc_u32_e32 v28, 19, v17
	v_lshlrev_b64 v[15:16], v16, -1
	s_delay_alu instid0(VALU_DEP_3) | instskip(NEXT) | instid1(VALU_DEP_3)
	v_lshrrev_b64 v[26:27], v17, v[5:6]
	v_lshlrev_b64 v[28:29], v28, 1
	s_delay_alu instid0(VALU_DEP_3) | instskip(NEXT) | instid1(VALU_DEP_1)
	v_not_b32_e32 v15, v15
	v_dual_mov_b32 v16, v6 :: v_dual_and_b32 v15, v5, v15
	s_delay_alu instid0(VALU_DEP_4) | instskip(NEXT) | instid1(VALU_DEP_2)
	v_and_b32_e32 v5, 0x100000, v26
	v_cmp_eq_u64_e64 s0, v[15:16], v[28:29]
	s_delay_alu instid0(VALU_DEP_2) | instskip(SKIP_2) | instid1(VALU_DEP_3)
	v_cmp_eq_u64_e64 s1, 0, v[5:6]
	v_cndmask_b32_e64 v5, v25, 0xffffff8a, vcc_lo
	v_lshrrev_b32_e32 v15, 23, v26
	s_and_b32 vcc_lo, s1, s0
	s_delay_alu instid0(VALU_DEP_1) | instskip(SKIP_2) | instid1(VALU_DEP_2)
	v_add3_u32 v17, v5, v17, v15
	v_subrev_co_ci_u32_e32 v16, vcc_lo, 0, v26, vcc_lo
	s_mov_b32 s0, exec_lo
	v_add_nc_u32_e32 v25, -1, v17
	s_delay_alu instid0(VALU_DEP_2) | instskip(NEXT) | instid1(VALU_DEP_1)
	v_and_b32_e32 v5, 0xfffff, v16
	v_add_co_u32 v15, vcc_lo, v5, v26
	v_add_co_ci_u32_e32 v16, vcc_lo, 0, v27, vcc_lo
                                        ; implicit-def: $vgpr5
	s_delay_alu instid0(VALU_DEP_4)
	v_cmpx_ne_u32_e32 0, v25
	s_xor_b32 s0, exec_lo, s0
; %bb.154:
	s_delay_alu instid0(VALU_DEP_3) | instskip(SKIP_1) | instid1(VALU_DEP_2)
	v_and_b32_e32 v5, 0x1000000, v15
	v_bfe_u32 v26, v15, 24, 1
	v_cmp_eq_u64_e32 vcc_lo, 0, v[5:6]
	s_delay_alu instid0(VALU_DEP_2)
	v_lshrrev_b64 v[15:16], v26, v[15:16]
	v_cndmask_b32_e32 v5, v17, v25, vcc_lo
; %bb.155:
	s_and_not1_saveexec_b32 s0, s0
; %bb.156:
	s_delay_alu instid0(VALU_DEP_2)
	v_bfe_u32 v5, v15, 23, 1
; %bb.157:
	s_or_b32 exec_lo, exec_lo, s0
	s_delay_alu instid0(VALU_DEP_3) | instskip(NEXT) | instid1(VALU_DEP_2)
	v_lshrrev_b64 v[15:16], 20, v[15:16]
	v_cmp_gt_i32_e32 vcc_lo, 16, v5
	v_and_b32_e32 v2, 0x80, v2
	v_min_i32_e32 v6, 15, v5
	v_cmp_eq_u32_e64 s0, 0, v5
	v_dual_cndmask_b32 v15, 7, v15 :: v_dual_cndmask_b32 v16, 0, v16
	s_delay_alu instid0(VALU_DEP_3) | instskip(NEXT) | instid1(VALU_DEP_2)
	v_lshl_or_b32 v2, v6, 3, v2
	v_cmp_eq_u64_e32 vcc_lo, 0, v[15:16]
	s_delay_alu instid0(VALU_DEP_2)
	v_and_or_b32 v2, v15, 7, v2
	s_and_b32 s0, s0, vcc_lo
	s_delay_alu instid0(VALU_DEP_1) | instid1(SALU_CYCLE_1)
	v_cndmask_b32_e64 v5, v2, 0, s0
.LBB7_158:
	s_or_b32 exec_lo, exec_lo, s8
.LBB7_159:
	s_and_not1_saveexec_b32 s0, s5
	s_delay_alu instid0(SALU_CYCLE_1)
	s_or_b32 exec_lo, exec_lo, s0
.LBB7_160:
	s_and_not1_saveexec_b32 s0, s4
	s_delay_alu instid0(SALU_CYCLE_1) | instskip(SKIP_3) | instid1(VALU_DEP_2)
	s_or_b32 exec_lo, exec_lo, s0
	v_dual_mov_b32 v7, 0 :: v_dual_and_b32 v2, 0xffff0000, v7
	v_and_b32_e32 v3, 0xffff0000, v3
	s_mov_b32 s0, 0x43600000
	v_mul_f32_e32 v2, v23, v2
	s_delay_alu instid0(VALU_DEP_1) | instskip(NEXT) | instid1(VALU_DEP_1)
	v_fmac_f32_e32 v2, v24, v3
	v_mul_f32_e32 v2, v20, v2
	s_delay_alu instid0(VALU_DEP_1) | instskip(SKIP_1) | instid1(VALU_DEP_1)
	v_minmax_f32 v16, v2, s0, 0xc3600000
	s_mov_b32 s0, exec_lo
	v_lshrrev_b32_e32 v15, 24, v16
	v_and_b32_e32 v6, 0x7f800000, v16
	s_delay_alu instid0(VALU_DEP_2) | instskip(NEXT) | instid1(VALU_DEP_2)
	v_or_b32_e32 v2, 0x7f, v15
	v_cmpx_ne_u64_e32 0x7f800000, v[6:7]
	s_xor_b32 s4, exec_lo, s0
	s_cbranch_execz .LBB7_170
; %bb.161:
	v_and_b32_e32 v6, 0x7fffffff, v16
	s_mov_b32 s0, exec_lo
	s_delay_alu instid0(VALU_DEP_1)
	v_cmpx_gt_u64_e32 0x43700001, v[6:7]
	s_xor_b32 s5, exec_lo, s0
	s_cbranch_execz .LBB7_169
; %bb.162:
	s_mov_b32 s8, exec_lo
	v_mov_b32_e32 v2, 0
	v_mov_b32_e32 v3, 0
	v_cmpx_ne_u32_e32 0, v16
	s_cbranch_execz .LBB7_168
; %bb.163:
	v_bfe_u32 v20, v16, 23, 8
	v_dual_mov_b32 v3, 0 :: v_dual_and_b32 v6, 0x7fffff, v16
	s_delay_alu instid0(VALU_DEP_2) | instskip(SKIP_2) | instid1(VALU_DEP_3)
	v_sub_nc_u32_e64 v2, 0x78, v20 clamp
	v_cmp_eq_u32_e32 vcc_lo, 0, v20
	v_add_nc_u32_e32 v20, 0xffffff89, v20
	v_cndmask_b32_e64 v25, v2, 0x77, vcc_lo
	v_or_b32_e32 v2, 0x800000, v6
	s_delay_alu instid0(VALU_DEP_1) | instskip(SKIP_1) | instid1(VALU_DEP_2)
	v_dual_cndmask_b32 v2, v2, v6 :: v_dual_add_nc_u32 v7, 20, v25
	v_add_nc_u32_e32 v16, 19, v25
	v_lshlrev_b64 v[6:7], v7, -1
	v_mov_b32_e32 v7, v3
	s_delay_alu instid0(VALU_DEP_4) | instskip(NEXT) | instid1(VALU_DEP_4)
	v_lshrrev_b64 v[23:24], v25, v[2:3]
	v_lshlrev_b64 v[16:17], v16, 1
	s_delay_alu instid0(VALU_DEP_4) | instskip(NEXT) | instid1(VALU_DEP_1)
	v_not_b32_e32 v6, v6
	v_and_b32_e32 v6, v2, v6
	s_delay_alu instid0(VALU_DEP_4) | instskip(NEXT) | instid1(VALU_DEP_2)
	v_and_b32_e32 v2, 0x100000, v23
	v_cmp_eq_u64_e64 s0, v[6:7], v[16:17]
	s_delay_alu instid0(VALU_DEP_2) | instskip(SKIP_2) | instid1(VALU_DEP_3)
	v_cmp_eq_u64_e64 s1, 0, v[2:3]
	v_cndmask_b32_e64 v2, v20, 0xffffff8a, vcc_lo
	v_lshrrev_b32_e32 v6, 23, v23
	s_and_b32 vcc_lo, s1, s0
	s_delay_alu instid0(VALU_DEP_1) | instskip(SKIP_2) | instid1(VALU_DEP_2)
	v_add3_u32 v16, v2, v25, v6
	v_subrev_co_ci_u32_e32 v7, vcc_lo, 0, v23, vcc_lo
	s_mov_b32 s0, exec_lo
	v_add_nc_u32_e32 v17, -1, v16
	s_delay_alu instid0(VALU_DEP_2) | instskip(NEXT) | instid1(VALU_DEP_1)
	v_and_b32_e32 v2, 0xfffff, v7
	v_add_co_u32 v6, vcc_lo, v2, v23
	v_add_co_ci_u32_e32 v7, vcc_lo, 0, v24, vcc_lo
                                        ; implicit-def: $vgpr2
	s_delay_alu instid0(VALU_DEP_4)
	v_cmpx_ne_u32_e32 0, v17
	s_xor_b32 s0, exec_lo, s0
; %bb.164:
	s_delay_alu instid0(VALU_DEP_3) | instskip(SKIP_1) | instid1(VALU_DEP_2)
	v_and_b32_e32 v2, 0x1000000, v6
	v_bfe_u32 v20, v6, 24, 1
	v_cmp_eq_u64_e32 vcc_lo, 0, v[2:3]
	s_delay_alu instid0(VALU_DEP_2)
	v_lshrrev_b64 v[6:7], v20, v[6:7]
	v_cndmask_b32_e32 v2, v16, v17, vcc_lo
; %bb.165:
	s_and_not1_saveexec_b32 s0, s0
; %bb.166:
	s_delay_alu instid0(VALU_DEP_2)
	v_bfe_u32 v2, v6, 23, 1
; %bb.167:
	s_or_b32 exec_lo, exec_lo, s0
	s_delay_alu instid0(VALU_DEP_3) | instskip(NEXT) | instid1(VALU_DEP_2)
	v_lshrrev_b64 v[6:7], 20, v[6:7]
	v_cmp_gt_i32_e32 vcc_lo, 16, v2
	v_and_b32_e32 v3, 0x80, v15
	v_min_i32_e32 v15, 15, v2
	v_cmp_eq_u32_e64 s0, 0, v2
	v_dual_cndmask_b32 v6, 7, v6 :: v_dual_cndmask_b32 v7, 0, v7
	s_delay_alu instid0(VALU_DEP_3) | instskip(NEXT) | instid1(VALU_DEP_2)
	v_lshl_or_b32 v3, v15, 3, v3
	v_cmp_eq_u64_e32 vcc_lo, 0, v[6:7]
	s_delay_alu instid0(VALU_DEP_2)
	v_and_or_b32 v2, v6, 7, v3
	s_and_b32 s0, s0, vcc_lo
	s_delay_alu instid0(VALU_DEP_1) | instid1(SALU_CYCLE_1)
	v_cndmask_b32_e64 v2, v2, 0, s0
.LBB7_168:
	s_or_b32 exec_lo, exec_lo, s8
.LBB7_169:
	s_and_not1_saveexec_b32 s0, s5
	s_delay_alu instid0(SALU_CYCLE_1)
	s_or_b32 exec_lo, exec_lo, s0
.LBB7_170:
	s_and_not1_saveexec_b32 s0, s4
	s_delay_alu instid0(SALU_CYCLE_1)
	s_or_b32 exec_lo, exec_lo, s0
	v_lshlrev_b32_e32 v3, 16, v5
	v_lshlrev_b32_e32 v7, 16, v14
	v_lshlrev_b64 v[5:6], 3, v[8:9]
	v_lshlrev_b32_e32 v2, 24, v2
	v_lshlrev_b32_e32 v1, 8, v1
	v_and_b32_e32 v3, 0xff0000, v3
	v_lshlrev_b32_e32 v9, 8, v13
	v_perm_b32 v0, v0, v7, 0x4020c0c
	v_and_b32_e32 v4, 0xff, v4
	v_and_b32_e32 v7, 0xff00, v1
	v_or_b32_e32 v2, v2, v3
	v_and_b32_e32 v12, 0xff, v12
	v_and_or_b32 v9, 0xff00, v9, v0
	v_add_co_u32 v0, vcc_lo, v18, v5
	v_add_co_ci_u32_e32 v1, vcc_lo, v19, v6, vcc_lo
	v_or3_b32 v3, v2, v7, v4
	s_delay_alu instid0(VALU_DEP_4)
	v_or_b32_e32 v2, v9, v12
	global_store_b64 v[0:1], v[2:3], off
.LBB7_171:
	s_or_b32 exec_lo, exec_lo, s3
	v_cmp_eq_u32_e32 vcc_lo, 0, v8
	s_cmp_lg_u64 s[6:7], 0
	s_cselect_b32 s0, -1, 0
	s_delay_alu instid0(SALU_CYCLE_1) | instskip(NEXT) | instid1(SALU_CYCLE_1)
	s_and_b32 s0, s0, vcc_lo
	s_and_saveexec_b32 s1, s0
	s_cbranch_execz .LBB7_173
; %bb.172:
	v_cmp_gt_f32_e32 vcc_lo, 0x800000, v22
	v_cndmask_b32_e64 v0, 1.0, 0x4f800000, vcc_lo
	s_delay_alu instid0(VALU_DEP_1) | instskip(NEXT) | instid1(VALU_DEP_1)
	v_mul_f32_e32 v0, v22, v0
	v_log_f32_e32 v0, v0
	s_waitcnt_depctr 0xfff
	v_mul_f32_e32 v1, 0x3f317217, v0
	v_cmp_gt_f32_e64 s0, 0x7f800000, |v0|
	s_delay_alu instid0(VALU_DEP_2) | instskip(NEXT) | instid1(VALU_DEP_1)
	v_fma_f32 v2, 0x3f317217, v0, -v1
	v_fmamk_f32 v2, v0, 0x3377d1cf, v2
	s_delay_alu instid0(VALU_DEP_1) | instskip(NEXT) | instid1(VALU_DEP_1)
	v_add_f32_e32 v1, v1, v2
	v_cndmask_b32_e64 v0, v0, v1, s0
	v_cndmask_b32_e64 v1, 0, 0x41b17218, vcc_lo
	s_delay_alu instid0(VALU_DEP_1) | instskip(SKIP_2) | instid1(VALU_DEP_3)
	v_sub_f32_e32 v2, v0, v1
	v_add_co_u32 v0, vcc_lo, s6, v10
	v_add_co_ci_u32_e32 v1, vcc_lo, s7, v11, vcc_lo
	v_add_f32_e32 v2, v21, v2
	global_store_b32 v[0:1], v2, off
.LBB7_173:
	s_or_b32 exec_lo, exec_lo, s1
                                        ; implicit-def: $vgpr21
                                        ; implicit-def: $vgpr10_vgpr11
                                        ; implicit-def: $vgpr0
                                        ; implicit-def: $vgpr1
                                        ; implicit-def: $vgpr8
                                        ; implicit-def: $vgpr5
                                        ; implicit-def: $vgpr20
                                        ; implicit-def: $vgpr18
                                        ; implicit-def: $vgpr19
.LBB7_174:
	s_and_not1_saveexec_b32 s0, s2
	s_cbranch_execz .LBB7_259
; %bb.175:
	s_mov_b32 s2, exec_lo
	v_cmpx_gt_u32_e64 s18, v5
	s_cbranch_execz .LBB7_257
; %bb.176:
	v_mov_b32_e32 v9, 0
	s_mov_b32 s0, 0x43600000
	s_delay_alu instid0(VALU_DEP_1) | instskip(NEXT) | instid1(VALU_DEP_1)
	v_lshlrev_b64 v[2:3], 4, v[8:9]
	v_add_co_u32 v0, vcc_lo, v0, v2
	s_delay_alu instid0(VALU_DEP_2) | instskip(SKIP_3) | instid1(VALU_DEP_1)
	v_add_co_ci_u32_e32 v1, vcc_lo, v1, v3, vcc_lo
	global_load_b128 v[0:3], v[0:1], off
	s_waitcnt vmcnt(0)
	v_dual_mov_b32 v5, v9 :: v_dual_lshlrev_b32 v4, 16, v0
	v_mul_f32_e32 v4, v20, v4
	s_delay_alu instid0(VALU_DEP_1) | instskip(NEXT) | instid1(VALU_DEP_1)
	v_minmax_f32 v6, v4, s0, 0xc3600000
	v_and_b32_e32 v4, 0x7f800000, v6
	v_lshrrev_b32_e32 v12, 24, v6
	s_delay_alu instid0(VALU_DEP_2) | instskip(NEXT) | instid1(VALU_DEP_2)
	v_cmp_ne_u64_e32 vcc_lo, 0x7f800000, v[4:5]
	v_or_b32_e32 v4, 0x7f, v12
	s_and_saveexec_b32 s0, vcc_lo
	s_delay_alu instid0(SALU_CYCLE_1)
	s_xor_b32 s3, exec_lo, s0
	s_cbranch_execz .LBB7_186
; %bb.177:
	v_dual_mov_b32 v14, v9 :: v_dual_and_b32 v13, 0x7fffffff, v6
	s_mov_b32 s0, exec_lo
	s_delay_alu instid0(VALU_DEP_1)
	v_cmpx_gt_u64_e32 0x43700001, v[13:14]
	s_xor_b32 s4, exec_lo, s0
	s_cbranch_execz .LBB7_185
; %bb.178:
	s_mov_b32 s5, exec_lo
	v_mov_b32_e32 v4, 0
	v_mov_b32_e32 v5, 0
	v_cmpx_ne_u32_e32 0, v6
	s_cbranch_execz .LBB7_184
; %bb.179:
	v_bfe_u32 v17, v6, 23, 8
	v_dual_mov_b32 v5, 0 :: v_dual_and_b32 v6, 0x7fffff, v6
	s_delay_alu instid0(VALU_DEP_2) | instskip(SKIP_2) | instid1(VALU_DEP_3)
	v_sub_nc_u32_e64 v4, 0x78, v17 clamp
	v_cmp_eq_u32_e32 vcc_lo, 0, v17
	v_add_nc_u32_e32 v17, 0xffffff89, v17
	v_cndmask_b32_e64 v22, v4, 0x77, vcc_lo
	v_or_b32_e32 v4, 0x800000, v6
	s_delay_alu instid0(VALU_DEP_2) | instskip(NEXT) | instid1(VALU_DEP_2)
	v_add_nc_u32_e32 v7, 20, v22
	v_cndmask_b32_e32 v4, v4, v6, vcc_lo
	v_add_nc_u32_e32 v13, 19, v22
	s_delay_alu instid0(VALU_DEP_3) | instskip(SKIP_1) | instid1(VALU_DEP_4)
	v_lshlrev_b64 v[6:7], v7, -1
	v_mov_b32_e32 v7, v5
	v_lshrrev_b64 v[15:16], v22, v[4:5]
	s_delay_alu instid0(VALU_DEP_4) | instskip(NEXT) | instid1(VALU_DEP_4)
	v_lshlrev_b64 v[13:14], v13, 1
	v_not_b32_e32 v6, v6
	s_delay_alu instid0(VALU_DEP_1) | instskip(NEXT) | instid1(VALU_DEP_4)
	v_and_b32_e32 v6, v4, v6
	v_and_b32_e32 v4, 0x100000, v15
	s_delay_alu instid0(VALU_DEP_2) | instskip(NEXT) | instid1(VALU_DEP_2)
	v_cmp_eq_u64_e64 s0, v[6:7], v[13:14]
	v_cmp_eq_u64_e64 s1, 0, v[4:5]
	v_cndmask_b32_e64 v4, v17, 0xffffff8a, vcc_lo
	v_lshrrev_b32_e32 v6, 23, v15
	s_delay_alu instid0(VALU_DEP_3) | instskip(NEXT) | instid1(VALU_DEP_1)
	s_and_b32 vcc_lo, s1, s0
	v_add3_u32 v13, v4, v22, v6
	v_subrev_co_ci_u32_e32 v7, vcc_lo, 0, v15, vcc_lo
	s_mov_b32 s0, exec_lo
	s_delay_alu instid0(VALU_DEP_2) | instskip(NEXT) | instid1(VALU_DEP_2)
	v_add_nc_u32_e32 v14, -1, v13
	v_and_b32_e32 v4, 0xfffff, v7
	s_delay_alu instid0(VALU_DEP_1) | instskip(SKIP_1) | instid1(VALU_DEP_4)
	v_add_co_u32 v6, vcc_lo, v4, v15
	v_add_co_ci_u32_e32 v7, vcc_lo, 0, v16, vcc_lo
                                        ; implicit-def: $vgpr4
	v_cmpx_ne_u32_e32 0, v14
	s_xor_b32 s0, exec_lo, s0
; %bb.180:
	s_delay_alu instid0(VALU_DEP_3) | instskip(SKIP_1) | instid1(VALU_DEP_2)
	v_and_b32_e32 v4, 0x1000000, v6
	v_bfe_u32 v15, v6, 24, 1
	v_cmp_eq_u64_e32 vcc_lo, 0, v[4:5]
	s_delay_alu instid0(VALU_DEP_2)
	v_lshrrev_b64 v[6:7], v15, v[6:7]
	v_cndmask_b32_e32 v4, v13, v14, vcc_lo
; %bb.181:
	s_and_not1_saveexec_b32 s0, s0
; %bb.182:
	s_delay_alu instid0(VALU_DEP_2)
	v_bfe_u32 v4, v6, 23, 1
; %bb.183:
	s_or_b32 exec_lo, exec_lo, s0
	s_delay_alu instid0(VALU_DEP_3) | instskip(NEXT) | instid1(VALU_DEP_2)
	v_lshrrev_b64 v[5:6], 20, v[6:7]
	v_cmp_gt_i32_e32 vcc_lo, 16, v4
	v_and_b32_e32 v7, 0x80, v12
	v_min_i32_e32 v12, 15, v4
	v_cmp_eq_u32_e64 s0, 0, v4
	v_dual_cndmask_b32 v6, 0, v6 :: v_dual_cndmask_b32 v5, 7, v5
	s_delay_alu instid0(VALU_DEP_3) | instskip(NEXT) | instid1(VALU_DEP_2)
	v_lshl_or_b32 v7, v12, 3, v7
	v_cmp_eq_u64_e32 vcc_lo, 0, v[5:6]
	s_delay_alu instid0(VALU_DEP_2)
	v_and_or_b32 v4, v5, 7, v7
	s_and_b32 s0, s0, vcc_lo
	s_delay_alu instid0(VALU_DEP_1) | instid1(SALU_CYCLE_1)
	v_cndmask_b32_e64 v4, v4, 0, s0
.LBB7_184:
	s_or_b32 exec_lo, exec_lo, s5
.LBB7_185:
	s_and_not1_saveexec_b32 s0, s4
	s_delay_alu instid0(SALU_CYCLE_1)
	s_or_b32 exec_lo, exec_lo, s0
.LBB7_186:
	s_and_not1_saveexec_b32 s0, s3
	s_delay_alu instid0(SALU_CYCLE_1) | instskip(SKIP_2) | instid1(VALU_DEP_1)
	s_or_b32 exec_lo, exec_lo, s0
	v_dual_mov_b32 v7, 0 :: v_dual_and_b32 v0, 0xffff0000, v0
	s_mov_b32 s0, 0x43600000
	v_mul_f32_e32 v0, v20, v0
	s_delay_alu instid0(VALU_DEP_1) | instskip(SKIP_1) | instid1(VALU_DEP_1)
	v_minmax_f32 v12, v0, s0, 0xc3600000
	s_mov_b32 s0, exec_lo
	v_lshrrev_b32_e32 v0, 24, v12
	v_and_b32_e32 v6, 0x7f800000, v12
	s_delay_alu instid0(VALU_DEP_2) | instskip(NEXT) | instid1(VALU_DEP_2)
	v_or_b32_e32 v5, 0x7f, v0
	v_cmpx_ne_u64_e32 0x7f800000, v[6:7]
	s_xor_b32 s3, exec_lo, s0
	s_cbranch_execz .LBB7_196
; %bb.187:
	v_and_b32_e32 v6, 0x7fffffff, v12
	s_mov_b32 s0, exec_lo
	s_delay_alu instid0(VALU_DEP_1)
	v_cmpx_gt_u64_e32 0x43700001, v[6:7]
	s_xor_b32 s4, exec_lo, s0
	s_cbranch_execz .LBB7_195
; %bb.188:
	s_mov_b32 s5, exec_lo
	v_mov_b32_e32 v5, 0
	v_mov_b32_e32 v6, 0
	v_cmpx_ne_u32_e32 0, v12
	s_cbranch_execz .LBB7_194
; %bb.189:
	v_bfe_u32 v7, v12, 23, 8
	v_mov_b32_e32 v6, 0
	v_and_b32_e32 v12, 0x7fffff, v12
	s_delay_alu instid0(VALU_DEP_3) | instskip(SKIP_2) | instid1(VALU_DEP_3)
	v_sub_nc_u32_e64 v5, 0x78, v7 clamp
	v_cmp_eq_u32_e32 vcc_lo, 0, v7
	v_add_nc_u32_e32 v7, 0xffffff89, v7
	v_cndmask_b32_e64 v14, v5, 0x77, vcc_lo
	v_or_b32_e32 v5, 0x800000, v12
	s_delay_alu instid0(VALU_DEP_2) | instskip(SKIP_1) | instid1(VALU_DEP_3)
	v_add_nc_u32_e32 v13, 20, v14
	v_add_nc_u32_e32 v17, 19, v14
	v_cndmask_b32_e32 v5, v5, v12, vcc_lo
	s_delay_alu instid0(VALU_DEP_3) | instskip(NEXT) | instid1(VALU_DEP_3)
	v_lshlrev_b64 v[12:13], v13, -1
	v_lshlrev_b64 v[22:23], v17, 1
	v_mov_b32_e32 v13, v6
	s_delay_alu instid0(VALU_DEP_4) | instskip(NEXT) | instid1(VALU_DEP_4)
	v_lshrrev_b64 v[15:16], v14, v[5:6]
	v_not_b32_e32 v12, v12
	s_delay_alu instid0(VALU_DEP_1) | instskip(NEXT) | instid1(VALU_DEP_3)
	v_and_b32_e32 v12, v5, v12
	v_and_b32_e32 v5, 0x100000, v15
	s_delay_alu instid0(VALU_DEP_2) | instskip(NEXT) | instid1(VALU_DEP_2)
	v_cmp_eq_u64_e64 s0, v[12:13], v[22:23]
	v_cmp_eq_u64_e64 s1, 0, v[5:6]
	v_cndmask_b32_e64 v5, v7, 0xffffff8a, vcc_lo
	v_lshrrev_b32_e32 v7, 23, v15
	s_delay_alu instid0(VALU_DEP_3) | instskip(NEXT) | instid1(VALU_DEP_1)
	s_and_b32 vcc_lo, s1, s0
	v_add3_u32 v7, v5, v14, v7
	s_mov_b32 s0, exec_lo
	v_subrev_co_ci_u32_e32 v12, vcc_lo, 0, v15, vcc_lo
	s_delay_alu instid0(VALU_DEP_2) | instskip(NEXT) | instid1(VALU_DEP_2)
	v_add_nc_u32_e32 v14, -1, v7
	v_and_b32_e32 v5, 0xfffff, v12
	s_delay_alu instid0(VALU_DEP_1) | instskip(SKIP_1) | instid1(VALU_DEP_4)
	v_add_co_u32 v12, vcc_lo, v5, v15
                                        ; implicit-def: $vgpr5
	v_add_co_ci_u32_e32 v13, vcc_lo, 0, v16, vcc_lo
	v_cmpx_ne_u32_e32 0, v14
	s_xor_b32 s0, exec_lo, s0
; %bb.190:
	s_delay_alu instid0(VALU_DEP_3) | instskip(SKIP_1) | instid1(VALU_DEP_2)
	v_and_b32_e32 v5, 0x1000000, v12
	v_bfe_u32 v15, v12, 24, 1
	v_cmp_eq_u64_e32 vcc_lo, 0, v[5:6]
	s_delay_alu instid0(VALU_DEP_2)
	v_lshrrev_b64 v[12:13], v15, v[12:13]
	v_cndmask_b32_e32 v5, v7, v14, vcc_lo
; %bb.191:
	s_and_not1_saveexec_b32 s0, s0
; %bb.192:
	s_delay_alu instid0(VALU_DEP_2)
	v_bfe_u32 v5, v12, 23, 1
; %bb.193:
	s_or_b32 exec_lo, exec_lo, s0
	s_delay_alu instid0(VALU_DEP_3) | instskip(NEXT) | instid1(VALU_DEP_2)
	v_lshrrev_b64 v[6:7], 20, v[12:13]
	v_cmp_gt_i32_e32 vcc_lo, 16, v5
	v_and_b32_e32 v0, 0x80, v0
	v_min_i32_e32 v12, 15, v5
	v_cmp_eq_u32_e64 s0, 0, v5
	v_dual_cndmask_b32 v7, 0, v7 :: v_dual_cndmask_b32 v6, 7, v6
	s_delay_alu instid0(VALU_DEP_3) | instskip(NEXT) | instid1(VALU_DEP_2)
	v_lshl_or_b32 v0, v12, 3, v0
	v_cmp_eq_u64_e32 vcc_lo, 0, v[6:7]
	s_delay_alu instid0(VALU_DEP_2)
	v_and_or_b32 v0, v6, 7, v0
	s_and_b32 s0, s0, vcc_lo
	s_delay_alu instid0(VALU_DEP_1) | instid1(SALU_CYCLE_1)
	v_cndmask_b32_e64 v5, v0, 0, s0
.LBB7_194:
	s_or_b32 exec_lo, exec_lo, s5
.LBB7_195:
	s_and_not1_saveexec_b32 s0, s4
	s_delay_alu instid0(SALU_CYCLE_1)
	s_or_b32 exec_lo, exec_lo, s0
.LBB7_196:
	s_and_not1_saveexec_b32 s0, s3
	s_delay_alu instid0(SALU_CYCLE_1) | instskip(SKIP_2) | instid1(VALU_DEP_1)
	s_or_b32 exec_lo, exec_lo, s0
	v_dual_mov_b32 v13, 0 :: v_dual_lshlrev_b32 v0, 16, v1
	s_mov_b32 s0, 0x43600000
	v_mul_f32_e32 v0, v20, v0
	s_delay_alu instid0(VALU_DEP_1) | instskip(SKIP_1) | instid1(VALU_DEP_1)
	v_minmax_f32 v14, v0, s0, 0xc3600000
	s_mov_b32 s0, exec_lo
	v_lshrrev_b32_e32 v0, 24, v14
	v_and_b32_e32 v12, 0x7f800000, v14
	s_delay_alu instid0(VALU_DEP_2) | instskip(NEXT) | instid1(VALU_DEP_2)
	v_or_b32_e32 v6, 0x7f, v0
	v_cmpx_ne_u64_e32 0x7f800000, v[12:13]
	s_xor_b32 s3, exec_lo, s0
	s_cbranch_execz .LBB7_206
; %bb.197:
	v_and_b32_e32 v12, 0x7fffffff, v14
	s_mov_b32 s0, exec_lo
	s_delay_alu instid0(VALU_DEP_1)
	v_cmpx_gt_u64_e32 0x43700001, v[12:13]
	s_xor_b32 s4, exec_lo, s0
	s_cbranch_execz .LBB7_205
; %bb.198:
	s_mov_b32 s5, exec_lo
	v_mov_b32_e32 v6, 0
	v_mov_b32_e32 v7, 0
	v_cmpx_ne_u32_e32 0, v14
	s_cbranch_execz .LBB7_204
; %bb.199:
	v_bfe_u32 v22, v14, 23, 8
	v_dual_mov_b32 v7, 0 :: v_dual_and_b32 v12, 0x7fffff, v14
	s_delay_alu instid0(VALU_DEP_2) | instskip(SKIP_2) | instid1(VALU_DEP_3)
	v_sub_nc_u32_e64 v6, 0x78, v22 clamp
	v_cmp_eq_u32_e32 vcc_lo, 0, v22
	v_add_nc_u32_e32 v22, 0xffffff89, v22
	v_cndmask_b32_e64 v23, v6, 0x77, vcc_lo
	v_or_b32_e32 v6, 0x800000, v12
	s_delay_alu instid0(VALU_DEP_1) | instskip(SKIP_1) | instid1(VALU_DEP_2)
	v_dual_cndmask_b32 v6, v6, v12 :: v_dual_add_nc_u32 v13, 20, v23
	v_add_nc_u32_e32 v14, 19, v23
	v_lshlrev_b64 v[12:13], v13, -1
	v_mov_b32_e32 v13, v7
	s_delay_alu instid0(VALU_DEP_4) | instskip(NEXT) | instid1(VALU_DEP_4)
	v_lshrrev_b64 v[16:17], v23, v[6:7]
	v_lshlrev_b64 v[14:15], v14, 1
	s_delay_alu instid0(VALU_DEP_4) | instskip(NEXT) | instid1(VALU_DEP_1)
	v_not_b32_e32 v12, v12
	v_and_b32_e32 v12, v6, v12
	s_delay_alu instid0(VALU_DEP_4) | instskip(NEXT) | instid1(VALU_DEP_2)
	v_and_b32_e32 v6, 0x100000, v16
	v_cmp_eq_u64_e64 s0, v[12:13], v[14:15]
	s_delay_alu instid0(VALU_DEP_2) | instskip(SKIP_2) | instid1(VALU_DEP_3)
	v_cmp_eq_u64_e64 s1, 0, v[6:7]
	v_cndmask_b32_e64 v6, v22, 0xffffff8a, vcc_lo
	v_lshrrev_b32_e32 v12, 23, v16
	s_and_b32 vcc_lo, s1, s0
	s_delay_alu instid0(VALU_DEP_1) | instskip(SKIP_2) | instid1(VALU_DEP_2)
	v_add3_u32 v14, v6, v23, v12
	v_subrev_co_ci_u32_e32 v13, vcc_lo, 0, v16, vcc_lo
	s_mov_b32 s0, exec_lo
	v_add_nc_u32_e32 v15, -1, v14
	s_delay_alu instid0(VALU_DEP_2) | instskip(NEXT) | instid1(VALU_DEP_1)
	v_and_b32_e32 v6, 0xfffff, v13
	v_add_co_u32 v12, vcc_lo, v6, v16
	v_add_co_ci_u32_e32 v13, vcc_lo, 0, v17, vcc_lo
                                        ; implicit-def: $vgpr6
	s_delay_alu instid0(VALU_DEP_4)
	v_cmpx_ne_u32_e32 0, v15
	s_xor_b32 s0, exec_lo, s0
; %bb.200:
	s_delay_alu instid0(VALU_DEP_3) | instskip(SKIP_1) | instid1(VALU_DEP_2)
	v_and_b32_e32 v6, 0x1000000, v12
	v_bfe_u32 v16, v12, 24, 1
	v_cmp_eq_u64_e32 vcc_lo, 0, v[6:7]
	s_delay_alu instid0(VALU_DEP_2)
	v_lshrrev_b64 v[12:13], v16, v[12:13]
	v_cndmask_b32_e32 v6, v14, v15, vcc_lo
; %bb.201:
	s_and_not1_saveexec_b32 s0, s0
; %bb.202:
	s_delay_alu instid0(VALU_DEP_2)
	v_bfe_u32 v6, v12, 23, 1
; %bb.203:
	s_or_b32 exec_lo, exec_lo, s0
	s_delay_alu instid0(VALU_DEP_3) | instskip(NEXT) | instid1(VALU_DEP_2)
	v_lshrrev_b64 v[12:13], 20, v[12:13]
	v_cmp_gt_i32_e32 vcc_lo, 16, v6
	v_and_b32_e32 v0, 0x80, v0
	v_min_i32_e32 v7, 15, v6
	v_cmp_eq_u32_e64 s0, 0, v6
	v_dual_cndmask_b32 v13, 0, v13 :: v_dual_cndmask_b32 v12, 7, v12
	s_delay_alu instid0(VALU_DEP_3) | instskip(NEXT) | instid1(VALU_DEP_2)
	v_lshl_or_b32 v0, v7, 3, v0
	v_cmp_eq_u64_e32 vcc_lo, 0, v[12:13]
	s_delay_alu instid0(VALU_DEP_2)
	v_and_or_b32 v0, v12, 7, v0
	s_and_b32 s0, s0, vcc_lo
	s_delay_alu instid0(VALU_DEP_1) | instid1(SALU_CYCLE_1)
	v_cndmask_b32_e64 v6, v0, 0, s0
.LBB7_204:
	s_or_b32 exec_lo, exec_lo, s5
.LBB7_205:
	s_and_not1_saveexec_b32 s0, s4
	s_delay_alu instid0(SALU_CYCLE_1)
	s_or_b32 exec_lo, exec_lo, s0
.LBB7_206:
	s_and_not1_saveexec_b32 s0, s3
	s_delay_alu instid0(SALU_CYCLE_1) | instskip(SKIP_2) | instid1(VALU_DEP_1)
	s_or_b32 exec_lo, exec_lo, s0
	v_dual_mov_b32 v13, 0 :: v_dual_and_b32 v0, 0xffff0000, v1
	s_mov_b32 s0, 0x43600000
	v_mul_f32_e32 v0, v20, v0
	s_delay_alu instid0(VALU_DEP_1) | instskip(SKIP_1) | instid1(VALU_DEP_1)
	v_minmax_f32 v14, v0, s0, 0xc3600000
	s_mov_b32 s0, exec_lo
	v_lshrrev_b32_e32 v7, 24, v14
	v_and_b32_e32 v12, 0x7f800000, v14
	s_delay_alu instid0(VALU_DEP_2) | instskip(NEXT) | instid1(VALU_DEP_2)
	v_or_b32_e32 v0, 0x7f, v7
	v_cmpx_ne_u64_e32 0x7f800000, v[12:13]
	s_xor_b32 s3, exec_lo, s0
	s_cbranch_execz .LBB7_216
; %bb.207:
	v_and_b32_e32 v12, 0x7fffffff, v14
	s_mov_b32 s0, exec_lo
	s_delay_alu instid0(VALU_DEP_1)
	v_cmpx_gt_u64_e32 0x43700001, v[12:13]
	s_xor_b32 s4, exec_lo, s0
	s_cbranch_execz .LBB7_215
; %bb.208:
	s_mov_b32 s5, exec_lo
	v_mov_b32_e32 v0, 0
	v_mov_b32_e32 v1, 0
	v_cmpx_ne_u32_e32 0, v14
	s_cbranch_execz .LBB7_214
; %bb.209:
	v_bfe_u32 v22, v14, 23, 8
	v_dual_mov_b32 v1, 0 :: v_dual_and_b32 v12, 0x7fffff, v14
	s_delay_alu instid0(VALU_DEP_2) | instskip(SKIP_2) | instid1(VALU_DEP_3)
	v_sub_nc_u32_e64 v0, 0x78, v22 clamp
	v_cmp_eq_u32_e32 vcc_lo, 0, v22
	v_add_nc_u32_e32 v22, 0xffffff89, v22
	v_cndmask_b32_e64 v23, v0, 0x77, vcc_lo
	v_or_b32_e32 v0, 0x800000, v12
	s_delay_alu instid0(VALU_DEP_1) | instskip(SKIP_1) | instid1(VALU_DEP_2)
	v_dual_cndmask_b32 v0, v0, v12 :: v_dual_add_nc_u32 v13, 20, v23
	v_add_nc_u32_e32 v14, 19, v23
	v_lshlrev_b64 v[12:13], v13, -1
	v_mov_b32_e32 v13, v1
	s_delay_alu instid0(VALU_DEP_4) | instskip(NEXT) | instid1(VALU_DEP_4)
	v_lshrrev_b64 v[16:17], v23, v[0:1]
	v_lshlrev_b64 v[14:15], v14, 1
	s_delay_alu instid0(VALU_DEP_4) | instskip(NEXT) | instid1(VALU_DEP_1)
	v_not_b32_e32 v12, v12
	v_and_b32_e32 v12, v0, v12
	s_delay_alu instid0(VALU_DEP_4) | instskip(NEXT) | instid1(VALU_DEP_2)
	v_and_b32_e32 v0, 0x100000, v16
	v_cmp_eq_u64_e64 s0, v[12:13], v[14:15]
	s_delay_alu instid0(VALU_DEP_2) | instskip(SKIP_2) | instid1(VALU_DEP_3)
	v_cmp_eq_u64_e64 s1, 0, v[0:1]
	v_cndmask_b32_e64 v0, v22, 0xffffff8a, vcc_lo
	v_lshrrev_b32_e32 v12, 23, v16
	s_and_b32 vcc_lo, s1, s0
	s_delay_alu instid0(VALU_DEP_1) | instskip(SKIP_2) | instid1(VALU_DEP_2)
	v_add3_u32 v14, v0, v23, v12
	v_subrev_co_ci_u32_e32 v13, vcc_lo, 0, v16, vcc_lo
	s_mov_b32 s0, exec_lo
	v_add_nc_u32_e32 v15, -1, v14
	s_delay_alu instid0(VALU_DEP_2) | instskip(NEXT) | instid1(VALU_DEP_1)
	v_and_b32_e32 v0, 0xfffff, v13
	v_add_co_u32 v12, vcc_lo, v0, v16
	v_add_co_ci_u32_e32 v13, vcc_lo, 0, v17, vcc_lo
                                        ; implicit-def: $vgpr0
	s_delay_alu instid0(VALU_DEP_4)
	v_cmpx_ne_u32_e32 0, v15
	s_xor_b32 s0, exec_lo, s0
; %bb.210:
	s_delay_alu instid0(VALU_DEP_3) | instskip(SKIP_1) | instid1(VALU_DEP_2)
	v_and_b32_e32 v0, 0x1000000, v12
	v_bfe_u32 v16, v12, 24, 1
	v_cmp_eq_u64_e32 vcc_lo, 0, v[0:1]
	s_delay_alu instid0(VALU_DEP_2)
	v_lshrrev_b64 v[12:13], v16, v[12:13]
	v_cndmask_b32_e32 v0, v14, v15, vcc_lo
; %bb.211:
	s_and_not1_saveexec_b32 s0, s0
; %bb.212:
	s_delay_alu instid0(VALU_DEP_2)
	v_bfe_u32 v0, v12, 23, 1
; %bb.213:
	s_or_b32 exec_lo, exec_lo, s0
	s_delay_alu instid0(VALU_DEP_3) | instskip(NEXT) | instid1(VALU_DEP_2)
	v_lshrrev_b64 v[12:13], 20, v[12:13]
	v_cmp_gt_i32_e32 vcc_lo, 16, v0
	v_and_b32_e32 v1, 0x80, v7
	v_min_i32_e32 v7, 15, v0
	v_cmp_eq_u32_e64 s0, 0, v0
	v_dual_cndmask_b32 v12, 7, v12 :: v_dual_cndmask_b32 v13, 0, v13
	s_delay_alu instid0(VALU_DEP_3) | instskip(NEXT) | instid1(VALU_DEP_2)
	v_lshl_or_b32 v1, v7, 3, v1
	v_cmp_eq_u64_e32 vcc_lo, 0, v[12:13]
	s_delay_alu instid0(VALU_DEP_2)
	v_and_or_b32 v0, v12, 7, v1
	s_and_b32 s0, s0, vcc_lo
	s_delay_alu instid0(VALU_DEP_1) | instid1(SALU_CYCLE_1)
	v_cndmask_b32_e64 v0, v0, 0, s0
.LBB7_214:
	s_or_b32 exec_lo, exec_lo, s5
.LBB7_215:
	s_and_not1_saveexec_b32 s0, s4
	s_delay_alu instid0(SALU_CYCLE_1)
	s_or_b32 exec_lo, exec_lo, s0
.LBB7_216:
	s_and_not1_saveexec_b32 s0, s3
	s_delay_alu instid0(SALU_CYCLE_1) | instskip(SKIP_2) | instid1(VALU_DEP_1)
	s_or_b32 exec_lo, exec_lo, s0
	v_dual_mov_b32 v14, 0 :: v_dual_lshlrev_b32 v1, 16, v2
	s_mov_b32 s0, 0x43600000
	v_mul_f32_e32 v1, v20, v1
	s_delay_alu instid0(VALU_DEP_1) | instskip(SKIP_1) | instid1(VALU_DEP_1)
	v_minmax_f32 v7, v1, s0, 0xc3600000
	s_mov_b32 s0, exec_lo
	v_lshrrev_b32_e32 v1, 24, v7
	v_and_b32_e32 v13, 0x7f800000, v7
	s_delay_alu instid0(VALU_DEP_2) | instskip(NEXT) | instid1(VALU_DEP_2)
	v_or_b32_e32 v12, 0x7f, v1
	v_cmpx_ne_u64_e32 0x7f800000, v[13:14]
	s_xor_b32 s3, exec_lo, s0
	s_cbranch_execz .LBB7_226
; %bb.217:
	v_and_b32_e32 v13, 0x7fffffff, v7
	s_mov_b32 s0, exec_lo
	s_delay_alu instid0(VALU_DEP_1)
	v_cmpx_gt_u64_e32 0x43700001, v[13:14]
	s_xor_b32 s4, exec_lo, s0
	s_cbranch_execz .LBB7_225
; %bb.218:
	s_mov_b32 s5, exec_lo
	v_mov_b32_e32 v12, 0
	v_mov_b32_e32 v13, 0
	v_cmpx_ne_u32_e32 0, v7
	s_cbranch_execz .LBB7_224
; %bb.219:
	v_bfe_u32 v24, v7, 23, 8
	v_and_b32_e32 v7, 0x7fffff, v7
	v_mov_b32_e32 v13, 0
	s_delay_alu instid0(VALU_DEP_3) | instskip(SKIP_1) | instid1(VALU_DEP_2)
	v_sub_nc_u32_e64 v12, 0x78, v24 clamp
	v_cmp_eq_u32_e32 vcc_lo, 0, v24
	v_cndmask_b32_e64 v25, v12, 0x77, vcc_lo
	v_or_b32_e32 v12, 0x800000, v7
	s_delay_alu instid0(VALU_DEP_2) | instskip(NEXT) | instid1(VALU_DEP_2)
	v_add_nc_u32_e32 v14, 20, v25
	v_dual_cndmask_b32 v12, v12, v7 :: v_dual_add_nc_u32 v7, 19, v25
	s_delay_alu instid0(VALU_DEP_2) | instskip(NEXT) | instid1(VALU_DEP_2)
	v_lshlrev_b64 v[14:15], v14, -1
	v_lshrrev_b64 v[22:23], v25, v[12:13]
	s_delay_alu instid0(VALU_DEP_3) | instskip(SKIP_1) | instid1(VALU_DEP_4)
	v_lshlrev_b64 v[16:17], v7, 1
	v_add_nc_u32_e32 v7, 0xffffff89, v24
	v_not_b32_e32 v14, v14
	v_mov_b32_e32 v15, v13
	s_delay_alu instid0(VALU_DEP_3) | instskip(NEXT) | instid1(VALU_DEP_3)
	v_cndmask_b32_e64 v7, v7, 0xffffff8a, vcc_lo
	v_and_b32_e32 v14, v12, v14
	v_and_b32_e32 v12, 0x100000, v22
	s_delay_alu instid0(VALU_DEP_2) | instskip(NEXT) | instid1(VALU_DEP_2)
	v_cmp_eq_u64_e64 s0, v[14:15], v[16:17]
	v_cmp_eq_u64_e64 s1, 0, v[12:13]
	v_lshrrev_b32_e32 v12, 23, v22
	s_delay_alu instid0(VALU_DEP_1) | instskip(NEXT) | instid1(VALU_DEP_3)
	v_add3_u32 v16, v7, v25, v12
	s_and_b32 vcc_lo, s1, s0
	s_mov_b32 s0, exec_lo
	v_subrev_co_ci_u32_e32 v14, vcc_lo, 0, v22, vcc_lo
	s_delay_alu instid0(VALU_DEP_2) | instskip(NEXT) | instid1(VALU_DEP_2)
	v_add_nc_u32_e32 v17, -1, v16
	v_and_b32_e32 v7, 0xfffff, v14
	s_delay_alu instid0(VALU_DEP_1) | instskip(SKIP_1) | instid1(VALU_DEP_4)
	v_add_co_u32 v14, vcc_lo, v7, v22
	v_add_co_ci_u32_e32 v15, vcc_lo, 0, v23, vcc_lo
                                        ; implicit-def: $vgpr7
	v_cmpx_ne_u32_e32 0, v17
	s_xor_b32 s0, exec_lo, s0
; %bb.220:
	s_delay_alu instid0(VALU_DEP_3) | instskip(SKIP_1) | instid1(VALU_DEP_2)
	v_and_b32_e32 v12, 0x1000000, v14
	v_bfe_u32 v7, v14, 24, 1
	v_cmp_eq_u64_e32 vcc_lo, 0, v[12:13]
	s_delay_alu instid0(VALU_DEP_2)
	v_lshrrev_b64 v[14:15], v7, v[14:15]
	v_cndmask_b32_e32 v7, v16, v17, vcc_lo
; %bb.221:
	s_and_not1_saveexec_b32 s0, s0
; %bb.222:
	s_delay_alu instid0(VALU_DEP_2)
	v_bfe_u32 v7, v14, 23, 1
; %bb.223:
	s_or_b32 exec_lo, exec_lo, s0
	s_delay_alu instid0(VALU_DEP_3) | instskip(NEXT) | instid1(VALU_DEP_2)
	v_lshrrev_b64 v[12:13], 20, v[14:15]
	v_cmp_gt_i32_e32 vcc_lo, 16, v7
	v_and_b32_e32 v1, 0x80, v1
	v_min_i32_e32 v14, 15, v7
	v_cmp_eq_u32_e64 s0, 0, v7
	v_dual_cndmask_b32 v12, 7, v12 :: v_dual_cndmask_b32 v13, 0, v13
	s_delay_alu instid0(VALU_DEP_3) | instskip(NEXT) | instid1(VALU_DEP_2)
	v_lshl_or_b32 v1, v14, 3, v1
	v_cmp_eq_u64_e32 vcc_lo, 0, v[12:13]
	s_delay_alu instid0(VALU_DEP_2)
	v_and_or_b32 v1, v12, 7, v1
	s_and_b32 s0, s0, vcc_lo
	s_delay_alu instid0(VALU_DEP_1) | instid1(SALU_CYCLE_1)
	v_cndmask_b32_e64 v12, v1, 0, s0
.LBB7_224:
	s_or_b32 exec_lo, exec_lo, s5
.LBB7_225:
	s_and_not1_saveexec_b32 s0, s4
	s_delay_alu instid0(SALU_CYCLE_1)
	s_or_b32 exec_lo, exec_lo, s0
.LBB7_226:
	s_and_not1_saveexec_b32 s0, s3
	s_delay_alu instid0(SALU_CYCLE_1) | instskip(SKIP_2) | instid1(VALU_DEP_1)
	s_or_b32 exec_lo, exec_lo, s0
	v_dual_mov_b32 v14, 0 :: v_dual_and_b32 v1, 0xffff0000, v2
	s_mov_b32 s0, 0x43600000
	v_mul_f32_e32 v1, v20, v1
	s_delay_alu instid0(VALU_DEP_1) | instskip(SKIP_1) | instid1(VALU_DEP_1)
	v_minmax_f32 v15, v1, s0, 0xc3600000
	s_mov_b32 s0, exec_lo
	v_lshrrev_b32_e32 v7, 24, v15
	v_and_b32_e32 v13, 0x7f800000, v15
	s_delay_alu instid0(VALU_DEP_2) | instskip(NEXT) | instid1(VALU_DEP_2)
	v_or_b32_e32 v1, 0x7f, v7
	v_cmpx_ne_u64_e32 0x7f800000, v[13:14]
	s_xor_b32 s3, exec_lo, s0
	s_cbranch_execz .LBB7_236
; %bb.227:
	v_and_b32_e32 v13, 0x7fffffff, v15
	s_mov_b32 s0, exec_lo
	s_delay_alu instid0(VALU_DEP_1)
	v_cmpx_gt_u64_e32 0x43700001, v[13:14]
	s_xor_b32 s4, exec_lo, s0
	s_cbranch_execz .LBB7_235
; %bb.228:
	s_mov_b32 s5, exec_lo
	v_mov_b32_e32 v1, 0
	v_mov_b32_e32 v2, 0
	v_cmpx_ne_u32_e32 0, v15
	s_cbranch_execz .LBB7_234
; %bb.229:
	v_bfe_u32 v17, v15, 23, 8
	v_dual_mov_b32 v2, 0 :: v_dual_and_b32 v13, 0x7fffff, v15
	s_delay_alu instid0(VALU_DEP_2) | instskip(SKIP_2) | instid1(VALU_DEP_3)
	v_sub_nc_u32_e64 v1, 0x78, v17 clamp
	v_cmp_eq_u32_e32 vcc_lo, 0, v17
	v_add_nc_u32_e32 v17, 0xffffff89, v17
	v_cndmask_b32_e64 v24, v1, 0x77, vcc_lo
	v_or_b32_e32 v1, 0x800000, v13
	s_delay_alu instid0(VALU_DEP_1) | instskip(SKIP_1) | instid1(VALU_DEP_2)
	v_dual_cndmask_b32 v1, v1, v13 :: v_dual_add_nc_u32 v14, 20, v24
	v_add_nc_u32_e32 v15, 19, v24
	v_lshlrev_b64 v[13:14], v14, -1
	v_mov_b32_e32 v14, v2
	s_delay_alu instid0(VALU_DEP_4) | instskip(NEXT) | instid1(VALU_DEP_4)
	v_lshrrev_b64 v[22:23], v24, v[1:2]
	v_lshlrev_b64 v[15:16], v15, 1
	s_delay_alu instid0(VALU_DEP_4) | instskip(NEXT) | instid1(VALU_DEP_1)
	v_not_b32_e32 v13, v13
	v_and_b32_e32 v13, v1, v13
	s_delay_alu instid0(VALU_DEP_4) | instskip(NEXT) | instid1(VALU_DEP_2)
	v_and_b32_e32 v1, 0x100000, v22
	v_cmp_eq_u64_e64 s0, v[13:14], v[15:16]
	s_delay_alu instid0(VALU_DEP_2) | instskip(SKIP_2) | instid1(VALU_DEP_3)
	v_cmp_eq_u64_e64 s1, 0, v[1:2]
	v_cndmask_b32_e64 v1, v17, 0xffffff8a, vcc_lo
	v_lshrrev_b32_e32 v13, 23, v22
	s_and_b32 vcc_lo, s1, s0
	s_delay_alu instid0(VALU_DEP_1) | instskip(SKIP_2) | instid1(VALU_DEP_2)
	v_add3_u32 v15, v1, v24, v13
	v_subrev_co_ci_u32_e32 v14, vcc_lo, 0, v22, vcc_lo
	s_mov_b32 s0, exec_lo
	v_add_nc_u32_e32 v16, -1, v15
	s_delay_alu instid0(VALU_DEP_2) | instskip(NEXT) | instid1(VALU_DEP_1)
	v_and_b32_e32 v1, 0xfffff, v14
	v_add_co_u32 v13, vcc_lo, v1, v22
	v_add_co_ci_u32_e32 v14, vcc_lo, 0, v23, vcc_lo
                                        ; implicit-def: $vgpr1
	s_delay_alu instid0(VALU_DEP_4)
	v_cmpx_ne_u32_e32 0, v16
	s_xor_b32 s0, exec_lo, s0
; %bb.230:
	s_delay_alu instid0(VALU_DEP_3) | instskip(SKIP_1) | instid1(VALU_DEP_2)
	v_and_b32_e32 v1, 0x1000000, v13
	v_bfe_u32 v17, v13, 24, 1
	v_cmp_eq_u64_e32 vcc_lo, 0, v[1:2]
	s_delay_alu instid0(VALU_DEP_2)
	v_lshrrev_b64 v[13:14], v17, v[13:14]
	v_cndmask_b32_e32 v1, v15, v16, vcc_lo
; %bb.231:
	s_and_not1_saveexec_b32 s0, s0
; %bb.232:
	s_delay_alu instid0(VALU_DEP_2)
	v_bfe_u32 v1, v13, 23, 1
; %bb.233:
	s_or_b32 exec_lo, exec_lo, s0
	s_delay_alu instid0(VALU_DEP_3) | instskip(NEXT) | instid1(VALU_DEP_2)
	v_lshrrev_b64 v[13:14], 20, v[13:14]
	v_cmp_gt_i32_e32 vcc_lo, 16, v1
	v_and_b32_e32 v2, 0x80, v7
	v_min_i32_e32 v7, 15, v1
	v_cmp_eq_u32_e64 s0, 0, v1
	v_dual_cndmask_b32 v13, 7, v13 :: v_dual_cndmask_b32 v14, 0, v14
	s_delay_alu instid0(VALU_DEP_3) | instskip(NEXT) | instid1(VALU_DEP_2)
	v_lshl_or_b32 v2, v7, 3, v2
	v_cmp_eq_u64_e32 vcc_lo, 0, v[13:14]
	s_delay_alu instid0(VALU_DEP_2)
	v_and_or_b32 v1, v13, 7, v2
	s_and_b32 s0, s0, vcc_lo
	s_delay_alu instid0(VALU_DEP_1) | instid1(SALU_CYCLE_1)
	v_cndmask_b32_e64 v1, v1, 0, s0
.LBB7_234:
	s_or_b32 exec_lo, exec_lo, s5
.LBB7_235:
	s_and_not1_saveexec_b32 s0, s4
	s_delay_alu instid0(SALU_CYCLE_1)
	s_or_b32 exec_lo, exec_lo, s0
.LBB7_236:
	s_and_not1_saveexec_b32 s0, s3
	s_delay_alu instid0(SALU_CYCLE_1) | instskip(SKIP_2) | instid1(VALU_DEP_1)
	s_or_b32 exec_lo, exec_lo, s0
	v_dual_mov_b32 v15, 0 :: v_dual_lshlrev_b32 v2, 16, v3
	s_mov_b32 s0, 0x43600000
	v_mul_f32_e32 v2, v20, v2
	s_delay_alu instid0(VALU_DEP_1) | instskip(SKIP_1) | instid1(VALU_DEP_1)
	v_minmax_f32 v7, v2, s0, 0xc3600000
	s_mov_b32 s0, exec_lo
	v_lshrrev_b32_e32 v2, 24, v7
	v_and_b32_e32 v14, 0x7f800000, v7
	s_delay_alu instid0(VALU_DEP_2) | instskip(NEXT) | instid1(VALU_DEP_2)
	v_or_b32_e32 v13, 0x7f, v2
	v_cmpx_ne_u64_e32 0x7f800000, v[14:15]
	s_xor_b32 s3, exec_lo, s0
	s_cbranch_execz .LBB7_246
; %bb.237:
	v_and_b32_e32 v14, 0x7fffffff, v7
	s_mov_b32 s0, exec_lo
	s_delay_alu instid0(VALU_DEP_1)
	v_cmpx_gt_u64_e32 0x43700001, v[14:15]
	s_xor_b32 s4, exec_lo, s0
	s_cbranch_execz .LBB7_245
; %bb.238:
	s_mov_b32 s5, exec_lo
	v_mov_b32_e32 v13, 0
	v_mov_b32_e32 v14, 0
	v_cmpx_ne_u32_e32 0, v7
	s_cbranch_execz .LBB7_244
; %bb.239:
	v_bfe_u32 v17, v7, 23, 8
	v_dual_mov_b32 v14, 0 :: v_dual_and_b32 v7, 0x7fffff, v7
	s_delay_alu instid0(VALU_DEP_2) | instskip(SKIP_1) | instid1(VALU_DEP_2)
	v_sub_nc_u32_e64 v13, 0x78, v17 clamp
	v_cmp_eq_u32_e32 vcc_lo, 0, v17
	v_cndmask_b32_e64 v22, v13, 0x77, vcc_lo
	s_delay_alu instid0(VALU_DEP_4) | instskip(NEXT) | instid1(VALU_DEP_2)
	v_or_b32_e32 v13, 0x800000, v7
	v_add_nc_u32_e32 v15, 20, v22
	s_delay_alu instid0(VALU_DEP_2) | instskip(SKIP_1) | instid1(VALU_DEP_3)
	v_cndmask_b32_e32 v13, v13, v7, vcc_lo
	v_add_nc_u32_e32 v7, 19, v22
	v_lshlrev_b64 v[15:16], v15, -1
	s_delay_alu instid0(VALU_DEP_3) | instskip(NEXT) | instid1(VALU_DEP_3)
	v_lshrrev_b64 v[23:24], v22, v[13:14]
	v_lshlrev_b64 v[25:26], v7, 1
	v_dual_mov_b32 v16, v14 :: v_dual_add_nc_u32 v7, 0xffffff89, v17
	s_delay_alu instid0(VALU_DEP_4) | instskip(NEXT) | instid1(VALU_DEP_2)
	v_not_b32_e32 v15, v15
	v_cndmask_b32_e64 v7, v7, 0xffffff8a, vcc_lo
	s_delay_alu instid0(VALU_DEP_2) | instskip(SKIP_1) | instid1(VALU_DEP_2)
	v_and_b32_e32 v15, v13, v15
	v_and_b32_e32 v13, 0x100000, v23
	v_cmp_eq_u64_e64 s0, v[15:16], v[25:26]
	s_delay_alu instid0(VALU_DEP_2) | instskip(SKIP_1) | instid1(VALU_DEP_1)
	v_cmp_eq_u64_e64 s1, 0, v[13:14]
	v_lshrrev_b32_e32 v13, 23, v23
	v_add3_u32 v17, v7, v22, v13
	s_delay_alu instid0(VALU_DEP_3) | instskip(SKIP_2) | instid1(VALU_DEP_2)
	s_and_b32 vcc_lo, s1, s0
	s_mov_b32 s0, exec_lo
	v_subrev_co_ci_u32_e32 v15, vcc_lo, 0, v23, vcc_lo
	v_add_nc_u32_e32 v22, -1, v17
	s_delay_alu instid0(VALU_DEP_2) | instskip(NEXT) | instid1(VALU_DEP_1)
	v_and_b32_e32 v7, 0xfffff, v15
	v_add_co_u32 v15, vcc_lo, v7, v23
	v_add_co_ci_u32_e32 v16, vcc_lo, 0, v24, vcc_lo
                                        ; implicit-def: $vgpr7
	s_delay_alu instid0(VALU_DEP_4)
	v_cmpx_ne_u32_e32 0, v22
	s_xor_b32 s0, exec_lo, s0
; %bb.240:
	s_delay_alu instid0(VALU_DEP_3) | instskip(SKIP_1) | instid1(VALU_DEP_2)
	v_and_b32_e32 v13, 0x1000000, v15
	v_bfe_u32 v7, v15, 24, 1
	v_cmp_eq_u64_e32 vcc_lo, 0, v[13:14]
	s_delay_alu instid0(VALU_DEP_2)
	v_lshrrev_b64 v[15:16], v7, v[15:16]
	v_cndmask_b32_e32 v7, v17, v22, vcc_lo
; %bb.241:
	s_and_not1_saveexec_b32 s0, s0
; %bb.242:
	s_delay_alu instid0(VALU_DEP_2)
	v_bfe_u32 v7, v15, 23, 1
; %bb.243:
	s_or_b32 exec_lo, exec_lo, s0
	s_delay_alu instid0(VALU_DEP_3) | instskip(NEXT) | instid1(VALU_DEP_2)
	v_lshrrev_b64 v[13:14], 20, v[15:16]
	v_cmp_gt_i32_e32 vcc_lo, 16, v7
	v_and_b32_e32 v2, 0x80, v2
	v_min_i32_e32 v15, 15, v7
	v_cmp_eq_u32_e64 s0, 0, v7
	v_dual_cndmask_b32 v13, 7, v13 :: v_dual_cndmask_b32 v14, 0, v14
	s_delay_alu instid0(VALU_DEP_3) | instskip(NEXT) | instid1(VALU_DEP_2)
	v_lshl_or_b32 v2, v15, 3, v2
	v_cmp_eq_u64_e32 vcc_lo, 0, v[13:14]
	s_delay_alu instid0(VALU_DEP_2)
	v_and_or_b32 v2, v13, 7, v2
	s_and_b32 s0, s0, vcc_lo
	s_delay_alu instid0(VALU_DEP_1) | instid1(SALU_CYCLE_1)
	v_cndmask_b32_e64 v13, v2, 0, s0
.LBB7_244:
	s_or_b32 exec_lo, exec_lo, s5
.LBB7_245:
	s_and_not1_saveexec_b32 s0, s4
	s_delay_alu instid0(SALU_CYCLE_1)
	s_or_b32 exec_lo, exec_lo, s0
.LBB7_246:
	s_and_not1_saveexec_b32 s0, s3
	s_delay_alu instid0(SALU_CYCLE_1) | instskip(SKIP_2) | instid1(VALU_DEP_1)
	s_or_b32 exec_lo, exec_lo, s0
	v_dual_mov_b32 v15, 0 :: v_dual_and_b32 v2, 0xffff0000, v3
	s_mov_b32 s0, 0x43600000
	v_mul_f32_e32 v2, v20, v2
	s_delay_alu instid0(VALU_DEP_1) | instskip(SKIP_1) | instid1(VALU_DEP_1)
	v_minmax_f32 v16, v2, s0, 0xc3600000
	s_mov_b32 s0, exec_lo
	v_lshrrev_b32_e32 v7, 24, v16
	v_and_b32_e32 v14, 0x7f800000, v16
	s_delay_alu instid0(VALU_DEP_2) | instskip(NEXT) | instid1(VALU_DEP_2)
	v_or_b32_e32 v2, 0x7f, v7
	v_cmpx_ne_u64_e32 0x7f800000, v[14:15]
	s_xor_b32 s3, exec_lo, s0
	s_cbranch_execz .LBB7_256
; %bb.247:
	v_and_b32_e32 v14, 0x7fffffff, v16
	s_mov_b32 s0, exec_lo
	s_delay_alu instid0(VALU_DEP_1)
	v_cmpx_gt_u64_e32 0x43700001, v[14:15]
	s_xor_b32 s4, exec_lo, s0
	s_cbranch_execz .LBB7_255
; %bb.248:
	s_mov_b32 s5, exec_lo
	v_mov_b32_e32 v2, 0
	v_mov_b32_e32 v3, 0
	v_cmpx_ne_u32_e32 0, v16
	s_cbranch_execz .LBB7_254
; %bb.249:
	v_bfe_u32 v20, v16, 23, 8
	v_dual_mov_b32 v3, 0 :: v_dual_and_b32 v14, 0x7fffff, v16
	s_delay_alu instid0(VALU_DEP_2) | instskip(SKIP_2) | instid1(VALU_DEP_3)
	v_sub_nc_u32_e64 v2, 0x78, v20 clamp
	v_cmp_eq_u32_e32 vcc_lo, 0, v20
	v_add_nc_u32_e32 v20, 0xffffff89, v20
	v_cndmask_b32_e64 v24, v2, 0x77, vcc_lo
	v_or_b32_e32 v2, 0x800000, v14
	s_delay_alu instid0(VALU_DEP_1) | instskip(SKIP_1) | instid1(VALU_DEP_2)
	v_dual_cndmask_b32 v2, v2, v14 :: v_dual_add_nc_u32 v15, 20, v24
	v_add_nc_u32_e32 v16, 19, v24
	v_lshlrev_b64 v[14:15], v15, -1
	v_mov_b32_e32 v15, v3
	s_delay_alu instid0(VALU_DEP_4) | instskip(NEXT) | instid1(VALU_DEP_4)
	v_lshrrev_b64 v[22:23], v24, v[2:3]
	v_lshlrev_b64 v[16:17], v16, 1
	s_delay_alu instid0(VALU_DEP_4) | instskip(NEXT) | instid1(VALU_DEP_1)
	v_not_b32_e32 v14, v14
	v_and_b32_e32 v14, v2, v14
	s_delay_alu instid0(VALU_DEP_4) | instskip(NEXT) | instid1(VALU_DEP_2)
	v_and_b32_e32 v2, 0x100000, v22
	v_cmp_eq_u64_e64 s0, v[14:15], v[16:17]
	s_delay_alu instid0(VALU_DEP_2) | instskip(SKIP_2) | instid1(VALU_DEP_3)
	v_cmp_eq_u64_e64 s1, 0, v[2:3]
	v_cndmask_b32_e64 v2, v20, 0xffffff8a, vcc_lo
	v_lshrrev_b32_e32 v14, 23, v22
	s_and_b32 vcc_lo, s1, s0
	s_delay_alu instid0(VALU_DEP_1) | instskip(SKIP_2) | instid1(VALU_DEP_2)
	v_add3_u32 v16, v2, v24, v14
	v_subrev_co_ci_u32_e32 v15, vcc_lo, 0, v22, vcc_lo
	s_mov_b32 s0, exec_lo
	v_add_nc_u32_e32 v17, -1, v16
	s_delay_alu instid0(VALU_DEP_2) | instskip(NEXT) | instid1(VALU_DEP_1)
	v_and_b32_e32 v2, 0xfffff, v15
	v_add_co_u32 v14, vcc_lo, v2, v22
	v_add_co_ci_u32_e32 v15, vcc_lo, 0, v23, vcc_lo
                                        ; implicit-def: $vgpr2
	s_delay_alu instid0(VALU_DEP_4)
	v_cmpx_ne_u32_e32 0, v17
	s_xor_b32 s0, exec_lo, s0
; %bb.250:
	s_delay_alu instid0(VALU_DEP_3) | instskip(SKIP_1) | instid1(VALU_DEP_2)
	v_and_b32_e32 v2, 0x1000000, v14
	v_bfe_u32 v20, v14, 24, 1
	v_cmp_eq_u64_e32 vcc_lo, 0, v[2:3]
	s_delay_alu instid0(VALU_DEP_2)
	v_lshrrev_b64 v[14:15], v20, v[14:15]
	v_cndmask_b32_e32 v2, v16, v17, vcc_lo
; %bb.251:
	s_and_not1_saveexec_b32 s0, s0
; %bb.252:
	s_delay_alu instid0(VALU_DEP_2)
	v_bfe_u32 v2, v14, 23, 1
; %bb.253:
	s_or_b32 exec_lo, exec_lo, s0
	s_delay_alu instid0(VALU_DEP_3) | instskip(NEXT) | instid1(VALU_DEP_2)
	v_lshrrev_b64 v[14:15], 20, v[14:15]
	v_cmp_gt_i32_e32 vcc_lo, 16, v2
	v_and_b32_e32 v3, 0x80, v7
	v_min_i32_e32 v7, 15, v2
	v_cmp_eq_u32_e64 s0, 0, v2
	v_dual_cndmask_b32 v14, 7, v14 :: v_dual_cndmask_b32 v15, 0, v15
	s_delay_alu instid0(VALU_DEP_3) | instskip(NEXT) | instid1(VALU_DEP_2)
	v_lshl_or_b32 v3, v7, 3, v3
	v_cmp_eq_u64_e32 vcc_lo, 0, v[14:15]
	s_delay_alu instid0(VALU_DEP_2)
	v_and_or_b32 v2, v14, 7, v3
	s_and_b32 s0, s0, vcc_lo
	s_delay_alu instid0(VALU_DEP_1) | instid1(SALU_CYCLE_1)
	v_cndmask_b32_e64 v2, v2, 0, s0
.LBB7_254:
	s_or_b32 exec_lo, exec_lo, s5
.LBB7_255:
	s_and_not1_saveexec_b32 s0, s4
	s_delay_alu instid0(SALU_CYCLE_1)
	s_or_b32 exec_lo, exec_lo, s0
.LBB7_256:
	s_and_not1_saveexec_b32 s0, s3
	s_delay_alu instid0(SALU_CYCLE_1)
	s_or_b32 exec_lo, exec_lo, s0
	v_lshlrev_b32_e32 v3, 16, v13
	v_lshlrev_b32_e32 v6, 16, v6
	;; [unrolled: 1-line block ×5, first 2 shown]
	v_and_b32_e32 v3, 0xff0000, v3
	v_perm_b32 v0, v0, v6, 0x4020c0c
	v_lshlrev_b64 v[13:14], 3, v[8:9]
	v_and_b32_e32 v6, 0xff, v12
	v_and_b32_e32 v7, 0xff00, v1
	v_or_b32_e32 v2, v2, v3
	v_and_b32_e32 v4, 0xff, v4
	v_and_or_b32 v5, 0xff00, v5, v0
	v_add_co_u32 v0, vcc_lo, v18, v13
	v_add_co_ci_u32_e32 v1, vcc_lo, v19, v14, vcc_lo
	v_or3_b32 v3, v2, v7, v6
	s_delay_alu instid0(VALU_DEP_4)
	v_or_b32_e32 v2, v5, v4
	global_store_b64 v[0:1], v[2:3], off
.LBB7_257:
	s_or_b32 exec_lo, exec_lo, s2
	v_cmp_eq_u32_e32 vcc_lo, 0, v8
	s_cmp_lg_u64 s[6:7], 0
	s_cselect_b32 s0, -1, 0
	s_delay_alu instid0(SALU_CYCLE_1) | instskip(NEXT) | instid1(SALU_CYCLE_1)
	s_and_b32 s0, s0, vcc_lo
	s_and_saveexec_b32 s1, s0
	s_cbranch_execz .LBB7_259
; %bb.258:
	v_add_co_u32 v0, vcc_lo, s6, v10
	v_add_co_ci_u32_e32 v1, vcc_lo, s7, v11, vcc_lo
	global_store_b32 v[0:1], v21, off
.LBB7_259:
	s_nop 0
	s_sendmsg sendmsg(MSG_DEALLOC_VGPRS)
	s_endpgm
	.section	.rodata,"a",@progbits
	.p2align	6, 0x0
	.amdhsa_kernel _ZN4vllm24merge_attn_states_kernelI14__hip_bfloat16N3c1015Float8_e4m3fnuzELj128ELb1EEEvPT0_PfPKT_PKfS9_SB_jjjjjjSB_
		.amdhsa_group_segment_fixed_size 0
		.amdhsa_private_segment_fixed_size 0
		.amdhsa_kernarg_size 80
		.amdhsa_user_sgpr_count 15
		.amdhsa_user_sgpr_dispatch_ptr 0
		.amdhsa_user_sgpr_queue_ptr 0
		.amdhsa_user_sgpr_kernarg_segment_ptr 1
		.amdhsa_user_sgpr_dispatch_id 0
		.amdhsa_user_sgpr_private_segment_size 0
		.amdhsa_wavefront_size32 1
		.amdhsa_uses_dynamic_stack 0
		.amdhsa_enable_private_segment 0
		.amdhsa_system_sgpr_workgroup_id_x 1
		.amdhsa_system_sgpr_workgroup_id_y 0
		.amdhsa_system_sgpr_workgroup_id_z 0
		.amdhsa_system_sgpr_workgroup_info 0
		.amdhsa_system_vgpr_workitem_id 0
		.amdhsa_next_free_vgpr 31
		.amdhsa_next_free_sgpr 24
		.amdhsa_reserve_vcc 1
		.amdhsa_float_round_mode_32 0
		.amdhsa_float_round_mode_16_64 0
		.amdhsa_float_denorm_mode_32 3
		.amdhsa_float_denorm_mode_16_64 3
		.amdhsa_dx10_clamp 1
		.amdhsa_ieee_mode 1
		.amdhsa_fp16_overflow 0
		.amdhsa_workgroup_processor_mode 1
		.amdhsa_memory_ordered 1
		.amdhsa_forward_progress 0
		.amdhsa_shared_vgpr_count 0
		.amdhsa_exception_fp_ieee_invalid_op 0
		.amdhsa_exception_fp_denorm_src 0
		.amdhsa_exception_fp_ieee_div_zero 0
		.amdhsa_exception_fp_ieee_overflow 0
		.amdhsa_exception_fp_ieee_underflow 0
		.amdhsa_exception_fp_ieee_inexact 0
		.amdhsa_exception_int_div_zero 0
	.end_amdhsa_kernel
	.section	.text._ZN4vllm24merge_attn_states_kernelI14__hip_bfloat16N3c1015Float8_e4m3fnuzELj128ELb1EEEvPT0_PfPKT_PKfS9_SB_jjjjjjSB_,"axG",@progbits,_ZN4vllm24merge_attn_states_kernelI14__hip_bfloat16N3c1015Float8_e4m3fnuzELj128ELb1EEEvPT0_PfPKT_PKfS9_SB_jjjjjjSB_,comdat
.Lfunc_end7:
	.size	_ZN4vllm24merge_attn_states_kernelI14__hip_bfloat16N3c1015Float8_e4m3fnuzELj128ELb1EEEvPT0_PfPKT_PKfS9_SB_jjjjjjSB_, .Lfunc_end7-_ZN4vllm24merge_attn_states_kernelI14__hip_bfloat16N3c1015Float8_e4m3fnuzELj128ELb1EEEvPT0_PfPKT_PKfS9_SB_jjjjjjSB_
                                        ; -- End function
	.section	.AMDGPU.csdata,"",@progbits
; Kernel info:
; codeLenInByte = 15444
; NumSgprs: 26
; NumVgprs: 31
; ScratchSize: 0
; MemoryBound: 0
; FloatMode: 240
; IeeeMode: 1
; LDSByteSize: 0 bytes/workgroup (compile time only)
; SGPRBlocks: 3
; VGPRBlocks: 3
; NumSGPRsForWavesPerEU: 26
; NumVGPRsForWavesPerEU: 31
; Occupancy: 16
; WaveLimiterHint : 0
; COMPUTE_PGM_RSRC2:SCRATCH_EN: 0
; COMPUTE_PGM_RSRC2:USER_SGPR: 15
; COMPUTE_PGM_RSRC2:TRAP_HANDLER: 0
; COMPUTE_PGM_RSRC2:TGID_X_EN: 1
; COMPUTE_PGM_RSRC2:TGID_Y_EN: 0
; COMPUTE_PGM_RSRC2:TGID_Z_EN: 0
; COMPUTE_PGM_RSRC2:TIDIG_COMP_CNT: 0
	.section	.text._ZN4vllm24merge_attn_states_kernelI14__hip_bfloat16S1_Lj128ELb0EEEvPT0_PfPKT_PKfS7_S9_jjjjjjS9_,"axG",@progbits,_ZN4vllm24merge_attn_states_kernelI14__hip_bfloat16S1_Lj128ELb0EEEvPT0_PfPKT_PKfS7_S9_jjjjjjS9_,comdat
	.protected	_ZN4vllm24merge_attn_states_kernelI14__hip_bfloat16S1_Lj128ELb0EEEvPT0_PfPKT_PKfS7_S9_jjjjjjS9_ ; -- Begin function _ZN4vllm24merge_attn_states_kernelI14__hip_bfloat16S1_Lj128ELb0EEEvPT0_PfPKT_PKfS7_S9_jjjjjjS9_
	.globl	_ZN4vllm24merge_attn_states_kernelI14__hip_bfloat16S1_Lj128ELb0EEEvPT0_PfPKT_PKfS7_S9_jjjjjjS9_
	.p2align	8
	.type	_ZN4vllm24merge_attn_states_kernelI14__hip_bfloat16S1_Lj128ELb0EEEvPT0_PfPKT_PKfS7_S9_jjjjjjS9_,@function
_ZN4vllm24merge_attn_states_kernelI14__hip_bfloat16S1_Lj128ELb0EEEvPT0_PfPKT_PKfS7_S9_jjjjjjS9_: ; @_ZN4vllm24merge_attn_states_kernelI14__hip_bfloat16S1_Lj128ELb0EEEvPT0_PfPKT_PKfS7_S9_jjjjjjS9_
; %bb.0:
	s_load_b128 s[16:19], s[0:1], 0x30
	v_lshl_add_u32 v0, s15, 7, v0
	s_waitcnt lgkmcnt(0)
	s_lshr_b32 s12, s18, 3
	s_mul_i32 s2, s17, s16
	s_delay_alu instid0(SALU_CYCLE_1) | instskip(NEXT) | instid1(SALU_CYCLE_1)
	s_mul_i32 s2, s2, s12
	v_cmp_gt_u32_e32 vcc_lo, s2, v0
	s_and_saveexec_b32 s2, vcc_lo
	s_cbranch_execz .LBB8_51
; %bb.1:
	v_cvt_f32_u32_e32 v1, s12
	v_cvt_f32_u32_e32 v3, s17
	s_sub_i32 s2, 0, s12
	s_clause 0x1
	s_load_b64 s[14:15], s[0:1], 0x40
	s_load_b256 s[4:11], s[0:1], 0x0
	v_rcp_iflag_f32_e32 v1, v1
	v_rcp_iflag_f32_e32 v3, v3
	s_waitcnt_depctr 0xfff
	v_mul_f32_e32 v1, 0x4f7ffffe, v1
	s_delay_alu instid0(VALU_DEP_1) | instskip(NEXT) | instid1(VALU_DEP_1)
	v_cvt_u32_f32_e32 v1, v1
	v_mul_lo_u32 v2, s2, v1
	s_sub_i32 s2, 0, s17
	s_delay_alu instid0(VALU_DEP_1) | instskip(NEXT) | instid1(VALU_DEP_1)
	v_mul_hi_u32 v2, v1, v2
	v_dual_mul_f32 v2, 0x4f7ffffe, v3 :: v_dual_add_nc_u32 v1, v1, v2
	s_delay_alu instid0(VALU_DEP_1) | instskip(NEXT) | instid1(VALU_DEP_2)
	v_mul_hi_u32 v1, v0, v1
	v_cvt_u32_f32_e32 v2, v2
	s_delay_alu instid0(VALU_DEP_1) | instskip(SKIP_1) | instid1(VALU_DEP_3)
	v_mul_lo_u32 v4, s2, v2
	s_load_b128 s[0:3], s[0:1], 0x20
	v_mul_lo_u32 v3, v1, s12
	v_add_nc_u32_e32 v5, 1, v1
	s_delay_alu instid0(VALU_DEP_3) | instskip(NEXT) | instid1(VALU_DEP_3)
	v_mul_hi_u32 v4, v2, v4
	v_sub_nc_u32_e32 v3, v0, v3
	s_delay_alu instid0(VALU_DEP_1) | instskip(SKIP_1) | instid1(VALU_DEP_4)
	v_subrev_nc_u32_e32 v6, s12, v3
	v_cmp_le_u32_e32 vcc_lo, s12, v3
	v_dual_cndmask_b32 v1, v1, v5 :: v_dual_add_nc_u32 v2, v2, v4
	s_delay_alu instid0(VALU_DEP_3) | instskip(NEXT) | instid1(VALU_DEP_2)
	v_cndmask_b32_e32 v3, v3, v6, vcc_lo
	v_add_nc_u32_e32 v5, 1, v1
	s_delay_alu instid0(VALU_DEP_2) | instskip(NEXT) | instid1(VALU_DEP_2)
	v_cmp_le_u32_e32 vcc_lo, s12, v3
	v_cndmask_b32_e32 v9, v1, v5, vcc_lo
	s_delay_alu instid0(VALU_DEP_1) | instskip(NEXT) | instid1(VALU_DEP_1)
	v_mul_hi_u32 v1, v9, v2
	v_mul_lo_u32 v2, v1, s17
	s_delay_alu instid0(VALU_DEP_1) | instskip(SKIP_1) | instid1(VALU_DEP_2)
	v_sub_nc_u32_e32 v4, v9, v2
	v_add_nc_u32_e32 v2, 1, v1
	v_cmp_le_u32_e32 vcc_lo, s17, v4
	v_subrev_nc_u32_e32 v6, s17, v4
	s_delay_alu instid0(VALU_DEP_3) | instskip(NEXT) | instid1(VALU_DEP_2)
	v_cndmask_b32_e32 v7, v1, v2, vcc_lo
	v_cndmask_b32_e32 v6, v4, v6, vcc_lo
	v_mov_b32_e32 v2, 0
	s_delay_alu instid0(VALU_DEP_3)
	v_add_nc_u32_e32 v10, 1, v7
	v_mul_lo_u32 v5, v9, s12
	v_mul_lo_u32 v1, v9, s19
	v_cmp_le_u32_e32 vcc_lo, s17, v6
	s_waitcnt lgkmcnt(0)
	v_mul_lo_u32 v3, v9, s14
	v_mov_b32_e32 v4, v2
	v_sub_nc_u32_e32 v8, v0, v5
	v_cndmask_b32_e32 v0, v7, v10, vcc_lo
	v_lshlrev_b64 v[1:2], 1, v[1:2]
	s_delay_alu instid0(VALU_DEP_4) | instskip(NEXT) | instid1(VALU_DEP_4)
	v_lshlrev_b64 v[6:7], 1, v[3:4]
	v_lshlrev_b32_e32 v5, 3, v8
	s_delay_alu instid0(VALU_DEP_4) | instskip(NEXT) | instid1(VALU_DEP_4)
	v_mul_lo_u32 v10, v0, s17
	v_add_co_u32 v3, vcc_lo, s0, v1
	v_add_co_ci_u32_e32 v4, vcc_lo, s1, v2, vcc_lo
	v_add_co_u32 v14, vcc_lo, s4, v6
	v_add_co_ci_u32_e32 v15, vcc_lo, s5, v7, vcc_lo
	v_sub_nc_u32_e32 v6, v9, v10
	s_mov_b32 s0, exec_lo
	v_cmpx_le_u32_e64 s15, v0
	s_xor_b32 s0, exec_lo, s0
	s_cbranch_execz .LBB8_7
; %bb.2:
	s_mov_b32 s1, exec_lo
	v_cmpx_gt_u32_e64 s18, v5
	s_cbranch_execz .LBB8_4
; %bb.3:
	v_mov_b32_e32 v9, 0
	s_delay_alu instid0(VALU_DEP_1) | instskip(NEXT) | instid1(VALU_DEP_1)
	v_lshlrev_b64 v[9:10], 4, v[8:9]
	v_add_co_u32 v1, vcc_lo, v3, v9
	s_delay_alu instid0(VALU_DEP_2)
	v_add_co_ci_u32_e32 v2, vcc_lo, v4, v10, vcc_lo
	v_add_co_u32 v9, vcc_lo, v14, v9
	v_add_co_ci_u32_e32 v10, vcc_lo, v15, v10, vcc_lo
	global_load_b128 v[1:4], v[1:2], off
	s_waitcnt vmcnt(0)
	global_store_b128 v[9:10], v[1:4], off
.LBB8_4:
	s_or_b32 exec_lo, exec_lo, s1
	v_cmp_eq_u32_e32 vcc_lo, 0, v8
	s_cmp_lg_u64 s[6:7], 0
	s_cselect_b32 s1, -1, 0
	s_delay_alu instid0(SALU_CYCLE_1) | instskip(NEXT) | instid1(SALU_CYCLE_1)
	s_and_b32 s4, s1, vcc_lo
	s_and_saveexec_b32 s1, s4
	s_cbranch_execz .LBB8_6
; %bb.5:
	v_mad_u64_u32 v[1:2], null, v6, s16, v[0:1]
	v_mov_b32_e32 v2, 0
	s_delay_alu instid0(VALU_DEP_1) | instskip(NEXT) | instid1(VALU_DEP_1)
	v_lshlrev_b64 v[0:1], 2, v[1:2]
	v_add_co_u32 v2, vcc_lo, s2, v0
	s_delay_alu instid0(VALU_DEP_2)
	v_add_co_ci_u32_e32 v3, vcc_lo, s3, v1, vcc_lo
	v_add_co_u32 v0, vcc_lo, s6, v0
	v_add_co_ci_u32_e32 v1, vcc_lo, s7, v1, vcc_lo
	global_load_b32 v2, v[2:3], off
	s_waitcnt vmcnt(0)
	global_store_b32 v[0:1], v2, off
.LBB8_6:
	s_or_b32 exec_lo, exec_lo, s1
                                        ; implicit-def: $vgpr8
                                        ; implicit-def: $vgpr0
                                        ; implicit-def: $vgpr6
                                        ; implicit-def: $vgpr5
                                        ; implicit-def: $vgpr1_vgpr2
                                        ; implicit-def: $vgpr3
                                        ; implicit-def: $vgpr4
                                        ; implicit-def: $vgpr14
                                        ; implicit-def: $vgpr15
.LBB8_7:
	s_and_not1_saveexec_b32 s0, s0
	s_cbranch_execz .LBB8_51
; %bb.8:
	v_mad_u64_u32 v[9:10], null, v6, s16, v[0:1]
	v_mov_b32_e32 v10, 0
	s_mov_b32 s1, exec_lo
	s_delay_alu instid0(VALU_DEP_1) | instskip(NEXT) | instid1(VALU_DEP_1)
	v_lshlrev_b64 v[10:11], 2, v[9:10]
	v_add_co_u32 v6, vcc_lo, s10, v10
	s_delay_alu instid0(VALU_DEP_2)
	v_add_co_ci_u32_e32 v7, vcc_lo, s11, v11, vcc_lo
	v_add_co_u32 v12, vcc_lo, s2, v10
	v_add_co_ci_u32_e32 v13, vcc_lo, s3, v11, vcc_lo
	global_load_b32 v0, v[6:7], off
	global_load_b32 v7, v[12:13], off
	s_waitcnt vmcnt(1)
	v_cmp_neq_f32_e64 vcc_lo, 0x7f800000, |v0|
	v_cndmask_b32_e32 v6, 0xff800000, v0, vcc_lo
	s_waitcnt vmcnt(0)
	v_cmp_neq_f32_e64 vcc_lo, 0x7f800000, |v7|
	v_cndmask_b32_e32 v7, 0xff800000, v7, vcc_lo
	s_delay_alu instid0(VALU_DEP_1) | instskip(NEXT) | instid1(VALU_DEP_1)
	v_dual_max_f32 v9, v7, v7 :: v_dual_max_f32 v0, v6, v6
	v_max_f32_e32 v16, v0, v9
	v_add_co_u32 v0, vcc_lo, s8, v1
	v_add_co_ci_u32_e32 v1, vcc_lo, s9, v2, vcc_lo
	s_delay_alu instid0(VALU_DEP_3)
	v_cmpx_neq_f32_e64 0x7f800000, |v16|
	s_xor_b32 s1, exec_lo, s1
	s_cbranch_execz .LBB8_46
; %bb.9:
	v_sub_f32_e32 v2, v6, v16
	v_sub_f32_e32 v6, v7, v16
	s_mov_b32 s2, exec_lo
	s_delay_alu instid0(VALU_DEP_1) | instskip(NEXT) | instid1(VALU_DEP_3)
	v_mul_f32_e32 v9, 0x3fb8aa3b, v6
	v_mul_f32_e32 v7, 0x3fb8aa3b, v2
	v_cmp_ngt_f32_e32 vcc_lo, 0xc2ce8ed0, v2
	s_delay_alu instid0(VALU_DEP_3) | instskip(NEXT) | instid1(VALU_DEP_3)
	v_fma_f32 v17, 0x3fb8aa3b, v6, -v9
	v_fma_f32 v12, 0x3fb8aa3b, v2, -v7
	v_rndne_f32_e32 v13, v7
	v_rndne_f32_e32 v18, v9
	s_delay_alu instid0(VALU_DEP_4) | instskip(NEXT) | instid1(VALU_DEP_3)
	v_fmac_f32_e32 v17, 0x32a5705f, v6
	v_dual_fmac_f32 v12, 0x32a5705f, v2 :: v_dual_sub_f32 v7, v7, v13
	s_delay_alu instid0(VALU_DEP_3) | instskip(NEXT) | instid1(VALU_DEP_2)
	v_sub_f32_e32 v9, v9, v18
	v_add_f32_e32 v7, v7, v12
	s_delay_alu instid0(VALU_DEP_2) | instskip(SKIP_2) | instid1(VALU_DEP_4)
	v_add_f32_e32 v9, v9, v17
	v_cvt_i32_f32_e32 v12, v13
	v_cvt_i32_f32_e32 v13, v18
	v_exp_f32_e32 v7, v7
	s_delay_alu instid0(VALU_DEP_3) | instskip(SKIP_3) | instid1(VALU_DEP_2)
	v_exp_f32_e32 v9, v9
	s_waitcnt_depctr 0xfff
	v_ldexp_f32 v7, v7, v12
	v_ldexp_f32 v9, v9, v13
	v_cndmask_b32_e32 v7, 0, v7, vcc_lo
	v_cmp_ngt_f32_e32 vcc_lo, 0xc2ce8ed0, v6
	s_delay_alu instid0(VALU_DEP_3) | instskip(SKIP_1) | instid1(VALU_DEP_4)
	v_cndmask_b32_e32 v9, 0, v9, vcc_lo
	v_cmp_nlt_f32_e32 vcc_lo, 0x42b17218, v2
	v_cndmask_b32_e32 v19, 0x7f800000, v7, vcc_lo
	v_cmp_nlt_f32_e32 vcc_lo, 0x42b17218, v6
	s_delay_alu instid0(VALU_DEP_4) | instskip(NEXT) | instid1(VALU_DEP_1)
	v_cndmask_b32_e32 v18, 0x7f800000, v9, vcc_lo
	v_add_f32_e32 v17, v19, v18
	v_cmpx_gt_u32_e64 s18, v5
	s_cbranch_execz .LBB8_43
; %bb.10:
	s_delay_alu instid0(VALU_DEP_2) | instskip(NEXT) | instid1(VALU_DEP_1)
	v_div_scale_f32 v20, null, v17, v17, v19
	v_rcp_f32_e32 v22, v20
	s_waitcnt_depctr 0xfff
	v_fma_f32 v24, -v20, v22, 1.0
	s_delay_alu instid0(VALU_DEP_1) | instskip(NEXT) | instid1(VALU_DEP_1)
	v_dual_mov_b32 v9, 0 :: v_dual_fmac_f32 v22, v24, v22
	v_lshlrev_b64 v[12:13], 4, v[8:9]
	v_div_scale_f32 v9, null, v17, v17, v18
	v_div_scale_f32 v24, s0, v19, v17, v19
	s_delay_alu instid0(VALU_DEP_3) | instskip(NEXT) | instid1(VALU_DEP_4)
	v_add_co_u32 v2, vcc_lo, v3, v12
	v_add_co_ci_u32_e32 v3, vcc_lo, v4, v13, vcc_lo
	v_add_co_u32 v0, vcc_lo, v0, v12
	v_add_co_ci_u32_e32 v1, vcc_lo, v1, v13, vcc_lo
	global_load_b128 v[4:7], v[2:3], off
	global_load_b128 v[0:3], v[0:1], off
	v_rcp_f32_e32 v21, v9
	v_mul_f32_e32 v26, v24, v22
	s_delay_alu instid0(VALU_DEP_1) | instskip(SKIP_2) | instid1(VALU_DEP_1)
	v_fma_f32 v28, -v20, v26, v24
	s_waitcnt_depctr 0xfff
	v_fma_f32 v23, -v9, v21, 1.0
	v_dual_fmac_f32 v26, v28, v22 :: v_dual_fmac_f32 v21, v23, v21
	v_div_scale_f32 v23, vcc_lo, v18, v17, v18
	s_delay_alu instid0(VALU_DEP_2) | instskip(NEXT) | instid1(VALU_DEP_2)
	v_fma_f32 v20, -v20, v26, v24
	v_mul_f32_e32 v25, v23, v21
	s_delay_alu instid0(VALU_DEP_1) | instskip(NEXT) | instid1(VALU_DEP_1)
	v_fma_f32 v27, -v9, v25, v23
	v_fmac_f32_e32 v25, v27, v21
	s_delay_alu instid0(VALU_DEP_1) | instskip(NEXT) | instid1(VALU_DEP_1)
	v_fma_f32 v9, -v9, v25, v23
	v_div_fmas_f32 v9, v9, v21, v25
	s_mov_b32 vcc_lo, s0
	v_div_fmas_f32 v20, v20, v22, v26
	s_delay_alu instid0(VALU_DEP_2) | instskip(NEXT) | instid1(VALU_DEP_2)
	v_div_fixup_f32 v18, v9, v17, v18
	v_div_fixup_f32 v19, v20, v17, v19
	s_waitcnt vmcnt(0)
	v_lshlrev_b32_e32 v21, 16, v0
	v_lshlrev_b32_e32 v9, 16, v4
	s_delay_alu instid0(VALU_DEP_1) | instskip(NEXT) | instid1(VALU_DEP_1)
	v_mul_f32_e32 v20, v18, v9
	v_fmac_f32_e32 v20, v19, v21
	s_delay_alu instid0(VALU_DEP_1) | instskip(NEXT) | instid1(VALU_DEP_1)
	v_and_b32_e32 v9, 0x7f800000, v20
	v_cmp_ne_u32_e32 vcc_lo, 0x7f800000, v9
                                        ; implicit-def: $vgpr9
	s_and_saveexec_b32 s0, vcc_lo
	s_delay_alu instid0(SALU_CYCLE_1)
	s_xor_b32 s0, exec_lo, s0
; %bb.11:
	v_bfe_u32 v9, v20, 16, 1
	s_delay_alu instid0(VALU_DEP_1)
	v_add3_u32 v9, v20, v9, 0x7fff
                                        ; implicit-def: $vgpr20
; %bb.12:
	s_and_not1_saveexec_b32 s0, s0
; %bb.13:
	v_and_b32_e32 v9, 0xffff, v20
	v_or_b32_e32 v21, 0x10000, v20
	s_delay_alu instid0(VALU_DEP_2) | instskip(NEXT) | instid1(VALU_DEP_2)
	v_cmp_eq_u32_e32 vcc_lo, 0, v9
	v_cndmask_b32_e32 v9, v21, v20, vcc_lo
; %bb.14:
	s_or_b32 exec_lo, exec_lo, s0
	v_and_b32_e32 v4, 0xffff0000, v4
	v_and_b32_e32 v0, 0xffff0000, v0
	s_delay_alu instid0(VALU_DEP_2) | instskip(NEXT) | instid1(VALU_DEP_1)
	v_mul_f32_e32 v4, v18, v4
	v_fmac_f32_e32 v4, v19, v0
	s_delay_alu instid0(VALU_DEP_1) | instskip(NEXT) | instid1(VALU_DEP_1)
	v_and_b32_e32 v0, 0x7f800000, v4
	v_cmp_ne_u32_e32 vcc_lo, 0x7f800000, v0
                                        ; implicit-def: $vgpr0
	s_and_saveexec_b32 s0, vcc_lo
	s_delay_alu instid0(SALU_CYCLE_1)
	s_xor_b32 s0, exec_lo, s0
; %bb.15:
	v_bfe_u32 v0, v4, 16, 1
	s_delay_alu instid0(VALU_DEP_1)
	v_add3_u32 v0, v4, v0, 0x7fff
                                        ; implicit-def: $vgpr4
; %bb.16:
	s_and_not1_saveexec_b32 s0, s0
; %bb.17:
	v_and_b32_e32 v0, 0xffff, v4
	v_or_b32_e32 v20, 0x10000, v4
	s_delay_alu instid0(VALU_DEP_2) | instskip(NEXT) | instid1(VALU_DEP_2)
	v_cmp_eq_u32_e32 vcc_lo, 0, v0
	v_cndmask_b32_e32 v0, v20, v4, vcc_lo
; %bb.18:
	s_or_b32 exec_lo, exec_lo, s0
	v_lshlrev_b32_e32 v4, 16, v5
	s_delay_alu instid0(VALU_DEP_1) | instskip(NEXT) | instid1(VALU_DEP_1)
	v_dual_mul_f32 v20, v18, v4 :: v_dual_lshlrev_b32 v21, 16, v1
	v_fmac_f32_e32 v20, v19, v21
	s_delay_alu instid0(VALU_DEP_1) | instskip(NEXT) | instid1(VALU_DEP_1)
	v_and_b32_e32 v4, 0x7f800000, v20
	v_cmp_ne_u32_e32 vcc_lo, 0x7f800000, v4
                                        ; implicit-def: $vgpr4
	s_and_saveexec_b32 s0, vcc_lo
	s_delay_alu instid0(SALU_CYCLE_1)
	s_xor_b32 s0, exec_lo, s0
; %bb.19:
	v_bfe_u32 v4, v20, 16, 1
	s_delay_alu instid0(VALU_DEP_1)
	v_add3_u32 v4, v20, v4, 0x7fff
                                        ; implicit-def: $vgpr20
; %bb.20:
	s_and_not1_saveexec_b32 s0, s0
; %bb.21:
	v_and_b32_e32 v4, 0xffff, v20
	v_or_b32_e32 v21, 0x10000, v20
	s_delay_alu instid0(VALU_DEP_2) | instskip(NEXT) | instid1(VALU_DEP_2)
	v_cmp_eq_u32_e32 vcc_lo, 0, v4
	v_cndmask_b32_e32 v4, v21, v20, vcc_lo
; %bb.22:
	s_or_b32 exec_lo, exec_lo, s0
	v_and_b32_e32 v5, 0xffff0000, v5
	v_and_b32_e32 v1, 0xffff0000, v1
	s_delay_alu instid0(VALU_DEP_2) | instskip(NEXT) | instid1(VALU_DEP_1)
	v_mul_f32_e32 v5, v18, v5
	v_fmac_f32_e32 v5, v19, v1
	s_delay_alu instid0(VALU_DEP_1) | instskip(NEXT) | instid1(VALU_DEP_1)
	v_and_b32_e32 v1, 0x7f800000, v5
	v_cmp_ne_u32_e32 vcc_lo, 0x7f800000, v1
                                        ; implicit-def: $vgpr1
	s_and_saveexec_b32 s0, vcc_lo
	s_delay_alu instid0(SALU_CYCLE_1)
	s_xor_b32 s0, exec_lo, s0
; %bb.23:
	v_bfe_u32 v1, v5, 16, 1
	s_delay_alu instid0(VALU_DEP_1)
	v_add3_u32 v1, v5, v1, 0x7fff
                                        ; implicit-def: $vgpr5
; %bb.24:
	s_and_not1_saveexec_b32 s0, s0
; %bb.25:
	v_and_b32_e32 v1, 0xffff, v5
	v_or_b32_e32 v20, 0x10000, v5
	s_delay_alu instid0(VALU_DEP_2) | instskip(NEXT) | instid1(VALU_DEP_2)
	v_cmp_eq_u32_e32 vcc_lo, 0, v1
	v_cndmask_b32_e32 v1, v20, v5, vcc_lo
; %bb.26:
	s_or_b32 exec_lo, exec_lo, s0
	v_lshlrev_b32_e32 v21, 16, v2
	v_lshlrev_b32_e32 v5, 16, v6
	s_delay_alu instid0(VALU_DEP_1) | instskip(NEXT) | instid1(VALU_DEP_1)
	v_mul_f32_e32 v20, v18, v5
	v_fmac_f32_e32 v20, v19, v21
	s_delay_alu instid0(VALU_DEP_1) | instskip(NEXT) | instid1(VALU_DEP_1)
	v_and_b32_e32 v5, 0x7f800000, v20
	v_cmp_ne_u32_e32 vcc_lo, 0x7f800000, v5
                                        ; implicit-def: $vgpr5
	s_and_saveexec_b32 s0, vcc_lo
	s_delay_alu instid0(SALU_CYCLE_1)
	s_xor_b32 s0, exec_lo, s0
; %bb.27:
	v_bfe_u32 v5, v20, 16, 1
	s_delay_alu instid0(VALU_DEP_1)
	v_add3_u32 v5, v20, v5, 0x7fff
                                        ; implicit-def: $vgpr20
; %bb.28:
	s_and_not1_saveexec_b32 s0, s0
; %bb.29:
	v_and_b32_e32 v5, 0xffff, v20
	v_or_b32_e32 v21, 0x10000, v20
	s_delay_alu instid0(VALU_DEP_2) | instskip(NEXT) | instid1(VALU_DEP_2)
	v_cmp_eq_u32_e32 vcc_lo, 0, v5
	v_cndmask_b32_e32 v5, v21, v20, vcc_lo
; %bb.30:
	s_or_b32 exec_lo, exec_lo, s0
	v_and_b32_e32 v6, 0xffff0000, v6
	v_and_b32_e32 v2, 0xffff0000, v2
	s_delay_alu instid0(VALU_DEP_2) | instskip(NEXT) | instid1(VALU_DEP_1)
	v_mul_f32_e32 v6, v18, v6
	v_fmac_f32_e32 v6, v19, v2
	s_delay_alu instid0(VALU_DEP_1) | instskip(NEXT) | instid1(VALU_DEP_1)
	v_and_b32_e32 v2, 0x7f800000, v6
	v_cmp_ne_u32_e32 vcc_lo, 0x7f800000, v2
                                        ; implicit-def: $vgpr2
	s_and_saveexec_b32 s0, vcc_lo
	s_delay_alu instid0(SALU_CYCLE_1)
	s_xor_b32 s0, exec_lo, s0
; %bb.31:
	v_bfe_u32 v2, v6, 16, 1
	s_delay_alu instid0(VALU_DEP_1)
	v_add3_u32 v2, v6, v2, 0x7fff
                                        ; implicit-def: $vgpr6
; %bb.32:
	s_and_not1_saveexec_b32 s0, s0
; %bb.33:
	v_and_b32_e32 v2, 0xffff, v6
	v_or_b32_e32 v20, 0x10000, v6
	s_delay_alu instid0(VALU_DEP_2) | instskip(NEXT) | instid1(VALU_DEP_2)
	v_cmp_eq_u32_e32 vcc_lo, 0, v2
	v_cndmask_b32_e32 v2, v20, v6, vcc_lo
; %bb.34:
	s_or_b32 exec_lo, exec_lo, s0
	v_lshlrev_b32_e32 v6, 16, v7
	s_delay_alu instid0(VALU_DEP_1) | instskip(NEXT) | instid1(VALU_DEP_1)
	v_dual_mul_f32 v20, v18, v6 :: v_dual_lshlrev_b32 v21, 16, v3
	v_fmac_f32_e32 v20, v19, v21
	s_delay_alu instid0(VALU_DEP_1) | instskip(NEXT) | instid1(VALU_DEP_1)
	v_and_b32_e32 v6, 0x7f800000, v20
	v_cmp_ne_u32_e32 vcc_lo, 0x7f800000, v6
                                        ; implicit-def: $vgpr6
	s_and_saveexec_b32 s0, vcc_lo
	s_delay_alu instid0(SALU_CYCLE_1)
	s_xor_b32 s0, exec_lo, s0
; %bb.35:
	v_bfe_u32 v6, v20, 16, 1
	s_delay_alu instid0(VALU_DEP_1)
	v_add3_u32 v6, v20, v6, 0x7fff
                                        ; implicit-def: $vgpr20
; %bb.36:
	s_and_not1_saveexec_b32 s0, s0
; %bb.37:
	v_and_b32_e32 v6, 0xffff, v20
	v_or_b32_e32 v21, 0x10000, v20
	s_delay_alu instid0(VALU_DEP_2) | instskip(NEXT) | instid1(VALU_DEP_2)
	v_cmp_eq_u32_e32 vcc_lo, 0, v6
	v_cndmask_b32_e32 v6, v21, v20, vcc_lo
; %bb.38:
	s_or_b32 exec_lo, exec_lo, s0
	v_and_b32_e32 v7, 0xffff0000, v7
	v_and_b32_e32 v20, 0xffff0000, v3
	s_delay_alu instid0(VALU_DEP_2) | instskip(NEXT) | instid1(VALU_DEP_1)
	v_mul_f32_e32 v3, v18, v7
	v_fmac_f32_e32 v3, v19, v20
	s_delay_alu instid0(VALU_DEP_1) | instskip(NEXT) | instid1(VALU_DEP_1)
	v_and_b32_e32 v7, 0x7f800000, v3
	v_cmp_ne_u32_e32 vcc_lo, 0x7f800000, v7
                                        ; implicit-def: $vgpr7
	s_and_saveexec_b32 s0, vcc_lo
	s_delay_alu instid0(SALU_CYCLE_1)
	s_xor_b32 s0, exec_lo, s0
; %bb.39:
	v_bfe_u32 v7, v3, 16, 1
	s_delay_alu instid0(VALU_DEP_1)
	v_add3_u32 v7, v3, v7, 0x7fff
                                        ; implicit-def: $vgpr3
; %bb.40:
	s_and_not1_saveexec_b32 s0, s0
; %bb.41:
	v_and_b32_e32 v7, 0xffff, v3
	v_or_b32_e32 v18, 0x10000, v3
	s_delay_alu instid0(VALU_DEP_2) | instskip(NEXT) | instid1(VALU_DEP_2)
	v_cmp_eq_u32_e32 vcc_lo, 0, v7
	v_cndmask_b32_e32 v7, v18, v3, vcc_lo
; %bb.42:
	s_or_b32 exec_lo, exec_lo, s0
	v_add_co_u32 v12, vcc_lo, v14, v12
	v_add_co_ci_u32_e32 v13, vcc_lo, v15, v13, vcc_lo
	s_delay_alu instid0(VALU_DEP_3)
	v_perm_b32 v3, v7, v6, 0x7060302
	v_perm_b32 v2, v2, v5, 0x7060302
	;; [unrolled: 1-line block ×4, first 2 shown]
	global_store_b128 v[12:13], v[0:3], off
.LBB8_43:
	s_or_b32 exec_lo, exec_lo, s2
	v_cmp_eq_u32_e32 vcc_lo, 0, v8
	s_cmp_lg_u64 s[6:7], 0
	s_cselect_b32 s0, -1, 0
	s_delay_alu instid0(SALU_CYCLE_1) | instskip(NEXT) | instid1(SALU_CYCLE_1)
	s_and_b32 s0, s0, vcc_lo
	s_and_saveexec_b32 s2, s0
	s_cbranch_execz .LBB8_45
; %bb.44:
	v_cmp_gt_f32_e32 vcc_lo, 0x800000, v17
	v_cndmask_b32_e64 v0, 1.0, 0x4f800000, vcc_lo
	s_delay_alu instid0(VALU_DEP_1) | instskip(NEXT) | instid1(VALU_DEP_1)
	v_mul_f32_e32 v0, v17, v0
	v_log_f32_e32 v0, v0
	s_waitcnt_depctr 0xfff
	v_mul_f32_e32 v1, 0x3f317217, v0
	v_cmp_gt_f32_e64 s0, 0x7f800000, |v0|
	s_delay_alu instid0(VALU_DEP_2) | instskip(NEXT) | instid1(VALU_DEP_1)
	v_fma_f32 v2, 0x3f317217, v0, -v1
	v_fmamk_f32 v2, v0, 0x3377d1cf, v2
	s_delay_alu instid0(VALU_DEP_1) | instskip(NEXT) | instid1(VALU_DEP_1)
	v_add_f32_e32 v1, v1, v2
	v_cndmask_b32_e64 v0, v0, v1, s0
	v_cndmask_b32_e64 v1, 0, 0x41b17218, vcc_lo
	s_delay_alu instid0(VALU_DEP_1) | instskip(SKIP_2) | instid1(VALU_DEP_3)
	v_sub_f32_e32 v2, v0, v1
	v_add_co_u32 v0, vcc_lo, s6, v10
	v_add_co_ci_u32_e32 v1, vcc_lo, s7, v11, vcc_lo
	v_add_f32_e32 v2, v16, v2
	global_store_b32 v[0:1], v2, off
.LBB8_45:
	s_or_b32 exec_lo, exec_lo, s2
                                        ; implicit-def: $vgpr8
                                        ; implicit-def: $vgpr10_vgpr11
                                        ; implicit-def: $vgpr16
                                        ; implicit-def: $vgpr5
                                        ; implicit-def: $vgpr14
                                        ; implicit-def: $vgpr15
                                        ; implicit-def: $vgpr0
                                        ; implicit-def: $vgpr1
.LBB8_46:
	s_and_not1_saveexec_b32 s0, s1
	s_cbranch_execz .LBB8_51
; %bb.47:
	s_mov_b32 s0, exec_lo
	v_cmpx_gt_u32_e64 s18, v5
	s_cbranch_execz .LBB8_49
; %bb.48:
	v_mov_b32_e32 v9, 0
	s_delay_alu instid0(VALU_DEP_1) | instskip(NEXT) | instid1(VALU_DEP_1)
	v_lshlrev_b64 v[4:5], 4, v[8:9]
	v_add_co_u32 v0, vcc_lo, v0, v4
	s_delay_alu instid0(VALU_DEP_2)
	v_add_co_ci_u32_e32 v1, vcc_lo, v1, v5, vcc_lo
	v_add_co_u32 v4, vcc_lo, v14, v4
	v_add_co_ci_u32_e32 v5, vcc_lo, v15, v5, vcc_lo
	global_load_b128 v[0:3], v[0:1], off
	s_waitcnt vmcnt(0)
	global_store_b128 v[4:5], v[0:3], off
.LBB8_49:
	s_or_b32 exec_lo, exec_lo, s0
	v_cmp_eq_u32_e32 vcc_lo, 0, v8
	s_cmp_lg_u64 s[6:7], 0
	s_cselect_b32 s0, -1, 0
	s_delay_alu instid0(SALU_CYCLE_1) | instskip(NEXT) | instid1(SALU_CYCLE_1)
	s_and_b32 s0, s0, vcc_lo
	s_and_saveexec_b32 s1, s0
	s_cbranch_execz .LBB8_51
; %bb.50:
	v_add_co_u32 v0, vcc_lo, s6, v10
	v_add_co_ci_u32_e32 v1, vcc_lo, s7, v11, vcc_lo
	global_store_b32 v[0:1], v16, off
.LBB8_51:
	s_nop 0
	s_sendmsg sendmsg(MSG_DEALLOC_VGPRS)
	s_endpgm
	.section	.rodata,"a",@progbits
	.p2align	6, 0x0
	.amdhsa_kernel _ZN4vllm24merge_attn_states_kernelI14__hip_bfloat16S1_Lj128ELb0EEEvPT0_PfPKT_PKfS7_S9_jjjjjjS9_
		.amdhsa_group_segment_fixed_size 0
		.amdhsa_private_segment_fixed_size 0
		.amdhsa_kernarg_size 80
		.amdhsa_user_sgpr_count 15
		.amdhsa_user_sgpr_dispatch_ptr 0
		.amdhsa_user_sgpr_queue_ptr 0
		.amdhsa_user_sgpr_kernarg_segment_ptr 1
		.amdhsa_user_sgpr_dispatch_id 0
		.amdhsa_user_sgpr_private_segment_size 0
		.amdhsa_wavefront_size32 1
		.amdhsa_uses_dynamic_stack 0
		.amdhsa_enable_private_segment 0
		.amdhsa_system_sgpr_workgroup_id_x 1
		.amdhsa_system_sgpr_workgroup_id_y 0
		.amdhsa_system_sgpr_workgroup_id_z 0
		.amdhsa_system_sgpr_workgroup_info 0
		.amdhsa_system_vgpr_workitem_id 0
		.amdhsa_next_free_vgpr 29
		.amdhsa_next_free_sgpr 20
		.amdhsa_reserve_vcc 1
		.amdhsa_float_round_mode_32 0
		.amdhsa_float_round_mode_16_64 0
		.amdhsa_float_denorm_mode_32 3
		.amdhsa_float_denorm_mode_16_64 3
		.amdhsa_dx10_clamp 1
		.amdhsa_ieee_mode 1
		.amdhsa_fp16_overflow 0
		.amdhsa_workgroup_processor_mode 1
		.amdhsa_memory_ordered 1
		.amdhsa_forward_progress 0
		.amdhsa_shared_vgpr_count 0
		.amdhsa_exception_fp_ieee_invalid_op 0
		.amdhsa_exception_fp_denorm_src 0
		.amdhsa_exception_fp_ieee_div_zero 0
		.amdhsa_exception_fp_ieee_overflow 0
		.amdhsa_exception_fp_ieee_underflow 0
		.amdhsa_exception_fp_ieee_inexact 0
		.amdhsa_exception_int_div_zero 0
	.end_amdhsa_kernel
	.section	.text._ZN4vllm24merge_attn_states_kernelI14__hip_bfloat16S1_Lj128ELb0EEEvPT0_PfPKT_PKfS7_S9_jjjjjjS9_,"axG",@progbits,_ZN4vllm24merge_attn_states_kernelI14__hip_bfloat16S1_Lj128ELb0EEEvPT0_PfPKT_PKfS7_S9_jjjjjjS9_,comdat
.Lfunc_end8:
	.size	_ZN4vllm24merge_attn_states_kernelI14__hip_bfloat16S1_Lj128ELb0EEEvPT0_PfPKT_PKfS7_S9_jjjjjjS9_, .Lfunc_end8-_ZN4vllm24merge_attn_states_kernelI14__hip_bfloat16S1_Lj128ELb0EEEvPT0_PfPKT_PKfS7_S9_jjjjjjS9_
                                        ; -- End function
	.section	.AMDGPU.csdata,"",@progbits
; Kernel info:
; codeLenInByte = 2616
; NumSgprs: 22
; NumVgprs: 29
; ScratchSize: 0
; MemoryBound: 1
; FloatMode: 240
; IeeeMode: 1
; LDSByteSize: 0 bytes/workgroup (compile time only)
; SGPRBlocks: 2
; VGPRBlocks: 3
; NumSGPRsForWavesPerEU: 22
; NumVGPRsForWavesPerEU: 29
; Occupancy: 16
; WaveLimiterHint : 0
; COMPUTE_PGM_RSRC2:SCRATCH_EN: 0
; COMPUTE_PGM_RSRC2:USER_SGPR: 15
; COMPUTE_PGM_RSRC2:TRAP_HANDLER: 0
; COMPUTE_PGM_RSRC2:TGID_X_EN: 1
; COMPUTE_PGM_RSRC2:TGID_Y_EN: 0
; COMPUTE_PGM_RSRC2:TGID_Z_EN: 0
; COMPUTE_PGM_RSRC2:TIDIG_COMP_CNT: 0
	.text
	.p2alignl 7, 3214868480
	.fill 96, 4, 3214868480
	.type	__hip_cuid_b704d69324d3e456,@object ; @__hip_cuid_b704d69324d3e456
	.section	.bss,"aw",@nobits
	.globl	__hip_cuid_b704d69324d3e456
__hip_cuid_b704d69324d3e456:
	.byte	0                               ; 0x0
	.size	__hip_cuid_b704d69324d3e456, 1

	.ident	"AMD clang version 19.0.0git (https://github.com/RadeonOpenCompute/llvm-project roc-6.4.0 25133 c7fe45cf4b819c5991fe208aaa96edf142730f1d)"
	.section	".note.GNU-stack","",@progbits
	.addrsig
	.addrsig_sym __hip_cuid_b704d69324d3e456
	.amdgpu_metadata
---
amdhsa.kernels:
  - .args:
      - .address_space:  global
        .offset:         0
        .size:           8
        .value_kind:     global_buffer
      - .address_space:  global
        .offset:         8
        .size:           8
        .value_kind:     global_buffer
      - .address_space:  global
        .offset:         16
        .size:           8
        .value_kind:     global_buffer
      - .address_space:  global
        .offset:         24
        .size:           8
        .value_kind:     global_buffer
      - .address_space:  global
        .offset:         32
        .size:           8
        .value_kind:     global_buffer
      - .address_space:  global
        .offset:         40
        .size:           8
        .value_kind:     global_buffer
      - .offset:         48
        .size:           4
        .value_kind:     by_value
      - .offset:         52
        .size:           4
        .value_kind:     by_value
      - .offset:         56
        .size:           4
        .value_kind:     by_value
      - .offset:         60
        .size:           4
        .value_kind:     by_value
      - .offset:         64
        .size:           4
        .value_kind:     by_value
      - .offset:         68
        .size:           4
        .value_kind:     by_value
      - .address_space:  global
        .offset:         72
        .size:           8
        .value_kind:     global_buffer
    .group_segment_fixed_size: 0
    .kernarg_segment_align: 8
    .kernarg_segment_size: 80
    .language:       OpenCL C
    .language_version:
      - 2
      - 0
    .max_flat_workgroup_size: 1024
    .name:           _ZN4vllm24merge_attn_states_kernelIfN3c1013Float8_e4m3fnELj128ELb1EEEvPT0_PfPKT_PKfS8_SA_jjjjjjSA_
    .private_segment_fixed_size: 0
    .sgpr_count:     26
    .sgpr_spill_count: 0
    .symbol:         _ZN4vllm24merge_attn_states_kernelIfN3c1013Float8_e4m3fnELj128ELb1EEEvPT0_PfPKT_PKfS8_SA_jjjjjjSA_.kd
    .uniform_work_group_size: 1
    .uses_dynamic_stack: false
    .vgpr_count:     29
    .vgpr_spill_count: 0
    .wavefront_size: 32
    .workgroup_processor_mode: 1
  - .args:
      - .address_space:  global
        .offset:         0
        .size:           8
        .value_kind:     global_buffer
      - .address_space:  global
        .offset:         8
        .size:           8
        .value_kind:     global_buffer
      - .address_space:  global
        .offset:         16
        .size:           8
        .value_kind:     global_buffer
      - .address_space:  global
        .offset:         24
        .size:           8
        .value_kind:     global_buffer
      - .address_space:  global
        .offset:         32
        .size:           8
        .value_kind:     global_buffer
      - .address_space:  global
        .offset:         40
        .size:           8
        .value_kind:     global_buffer
      - .offset:         48
        .size:           4
        .value_kind:     by_value
      - .offset:         52
        .size:           4
        .value_kind:     by_value
      - .offset:         56
        .size:           4
        .value_kind:     by_value
      - .offset:         60
        .size:           4
        .value_kind:     by_value
      - .offset:         64
        .size:           4
        .value_kind:     by_value
      - .offset:         68
        .size:           4
        .value_kind:     by_value
      - .address_space:  global
        .offset:         72
        .size:           8
        .value_kind:     global_buffer
    .group_segment_fixed_size: 0
    .kernarg_segment_align: 8
    .kernarg_segment_size: 80
    .language:       OpenCL C
    .language_version:
      - 2
      - 0
    .max_flat_workgroup_size: 1024
    .name:           _ZN4vllm24merge_attn_states_kernelIfN3c1015Float8_e4m3fnuzELj128ELb1EEEvPT0_PfPKT_PKfS8_SA_jjjjjjSA_
    .private_segment_fixed_size: 0
    .sgpr_count:     26
    .sgpr_spill_count: 0
    .symbol:         _ZN4vllm24merge_attn_states_kernelIfN3c1015Float8_e4m3fnuzELj128ELb1EEEvPT0_PfPKT_PKfS8_SA_jjjjjjSA_.kd
    .uniform_work_group_size: 1
    .uses_dynamic_stack: false
    .vgpr_count:     29
    .vgpr_spill_count: 0
    .wavefront_size: 32
    .workgroup_processor_mode: 1
  - .args:
      - .address_space:  global
        .offset:         0
        .size:           8
        .value_kind:     global_buffer
      - .address_space:  global
        .offset:         8
        .size:           8
        .value_kind:     global_buffer
      - .address_space:  global
        .offset:         16
        .size:           8
        .value_kind:     global_buffer
      - .address_space:  global
        .offset:         24
        .size:           8
        .value_kind:     global_buffer
      - .address_space:  global
        .offset:         32
        .size:           8
        .value_kind:     global_buffer
      - .address_space:  global
        .offset:         40
        .size:           8
        .value_kind:     global_buffer
      - .offset:         48
        .size:           4
        .value_kind:     by_value
      - .offset:         52
        .size:           4
        .value_kind:     by_value
      - .offset:         56
        .size:           4
        .value_kind:     by_value
      - .offset:         60
        .size:           4
        .value_kind:     by_value
      - .offset:         64
        .size:           4
        .value_kind:     by_value
      - .offset:         68
        .size:           4
        .value_kind:     by_value
      - .address_space:  global
        .offset:         72
        .size:           8
        .value_kind:     global_buffer
    .group_segment_fixed_size: 0
    .kernarg_segment_align: 8
    .kernarg_segment_size: 80
    .language:       OpenCL C
    .language_version:
      - 2
      - 0
    .max_flat_workgroup_size: 1024
    .name:           _ZN4vllm24merge_attn_states_kernelIffLj128ELb0EEEvPT0_PfPKT_PKfS6_S8_jjjjjjS8_
    .private_segment_fixed_size: 0
    .sgpr_count:     22
    .sgpr_spill_count: 0
    .symbol:         _ZN4vllm24merge_attn_states_kernelIffLj128ELb0EEEvPT0_PfPKT_PKfS6_S8_jjjjjjS8_.kd
    .uniform_work_group_size: 1
    .uses_dynamic_stack: false
    .vgpr_count:     29
    .vgpr_spill_count: 0
    .wavefront_size: 32
    .workgroup_processor_mode: 1
  - .args:
      - .address_space:  global
        .offset:         0
        .size:           8
        .value_kind:     global_buffer
      - .address_space:  global
        .offset:         8
        .size:           8
        .value_kind:     global_buffer
      - .address_space:  global
        .offset:         16
        .size:           8
        .value_kind:     global_buffer
      - .address_space:  global
        .offset:         24
        .size:           8
        .value_kind:     global_buffer
      - .address_space:  global
        .offset:         32
        .size:           8
        .value_kind:     global_buffer
      - .address_space:  global
        .offset:         40
        .size:           8
        .value_kind:     global_buffer
      - .offset:         48
        .size:           4
        .value_kind:     by_value
      - .offset:         52
        .size:           4
        .value_kind:     by_value
      - .offset:         56
        .size:           4
        .value_kind:     by_value
      - .offset:         60
        .size:           4
        .value_kind:     by_value
      - .offset:         64
        .size:           4
        .value_kind:     by_value
      - .offset:         68
        .size:           4
        .value_kind:     by_value
      - .address_space:  global
        .offset:         72
        .size:           8
        .value_kind:     global_buffer
    .group_segment_fixed_size: 0
    .kernarg_segment_align: 8
    .kernarg_segment_size: 80
    .language:       OpenCL C
    .language_version:
      - 2
      - 0
    .max_flat_workgroup_size: 1024
    .name:           _ZN4vllm24merge_attn_states_kernelItN3c1013Float8_e4m3fnELj128ELb1EEEvPT0_PfPKT_PKfS8_SA_jjjjjjSA_
    .private_segment_fixed_size: 0
    .sgpr_count:     26
    .sgpr_spill_count: 0
    .symbol:         _ZN4vllm24merge_attn_states_kernelItN3c1013Float8_e4m3fnELj128ELb1EEEvPT0_PfPKT_PKfS8_SA_jjjjjjSA_.kd
    .uniform_work_group_size: 1
    .uses_dynamic_stack: false
    .vgpr_count:     38
    .vgpr_spill_count: 0
    .wavefront_size: 32
    .workgroup_processor_mode: 1
  - .args:
      - .address_space:  global
        .offset:         0
        .size:           8
        .value_kind:     global_buffer
      - .address_space:  global
        .offset:         8
        .size:           8
        .value_kind:     global_buffer
      - .address_space:  global
        .offset:         16
        .size:           8
        .value_kind:     global_buffer
      - .address_space:  global
        .offset:         24
        .size:           8
        .value_kind:     global_buffer
      - .address_space:  global
        .offset:         32
        .size:           8
        .value_kind:     global_buffer
      - .address_space:  global
        .offset:         40
        .size:           8
        .value_kind:     global_buffer
      - .offset:         48
        .size:           4
        .value_kind:     by_value
      - .offset:         52
        .size:           4
        .value_kind:     by_value
      - .offset:         56
        .size:           4
        .value_kind:     by_value
      - .offset:         60
        .size:           4
        .value_kind:     by_value
      - .offset:         64
        .size:           4
        .value_kind:     by_value
      - .offset:         68
        .size:           4
        .value_kind:     by_value
      - .address_space:  global
        .offset:         72
        .size:           8
        .value_kind:     global_buffer
    .group_segment_fixed_size: 0
    .kernarg_segment_align: 8
    .kernarg_segment_size: 80
    .language:       OpenCL C
    .language_version:
      - 2
      - 0
    .max_flat_workgroup_size: 1024
    .name:           _ZN4vllm24merge_attn_states_kernelItN3c1015Float8_e4m3fnuzELj128ELb1EEEvPT0_PfPKT_PKfS8_SA_jjjjjjSA_
    .private_segment_fixed_size: 0
    .sgpr_count:     26
    .sgpr_spill_count: 0
    .symbol:         _ZN4vllm24merge_attn_states_kernelItN3c1015Float8_e4m3fnuzELj128ELb1EEEvPT0_PfPKT_PKfS8_SA_jjjjjjSA_.kd
    .uniform_work_group_size: 1
    .uses_dynamic_stack: false
    .vgpr_count:     36
    .vgpr_spill_count: 0
    .wavefront_size: 32
    .workgroup_processor_mode: 1
  - .args:
      - .address_space:  global
        .offset:         0
        .size:           8
        .value_kind:     global_buffer
      - .address_space:  global
        .offset:         8
        .size:           8
        .value_kind:     global_buffer
      - .address_space:  global
        .offset:         16
        .size:           8
        .value_kind:     global_buffer
      - .address_space:  global
        .offset:         24
        .size:           8
        .value_kind:     global_buffer
      - .address_space:  global
        .offset:         32
        .size:           8
        .value_kind:     global_buffer
      - .address_space:  global
        .offset:         40
        .size:           8
        .value_kind:     global_buffer
      - .offset:         48
        .size:           4
        .value_kind:     by_value
      - .offset:         52
        .size:           4
        .value_kind:     by_value
      - .offset:         56
        .size:           4
        .value_kind:     by_value
      - .offset:         60
        .size:           4
        .value_kind:     by_value
      - .offset:         64
        .size:           4
        .value_kind:     by_value
      - .offset:         68
        .size:           4
        .value_kind:     by_value
      - .address_space:  global
        .offset:         72
        .size:           8
        .value_kind:     global_buffer
    .group_segment_fixed_size: 0
    .kernarg_segment_align: 8
    .kernarg_segment_size: 80
    .language:       OpenCL C
    .language_version:
      - 2
      - 0
    .max_flat_workgroup_size: 1024
    .name:           _ZN4vllm24merge_attn_states_kernelIttLj128ELb0EEEvPT0_PfPKT_PKfS6_S8_jjjjjjS8_
    .private_segment_fixed_size: 0
    .sgpr_count:     22
    .sgpr_spill_count: 0
    .symbol:         _ZN4vllm24merge_attn_states_kernelIttLj128ELb0EEEvPT0_PfPKT_PKfS6_S8_jjjjjjS8_.kd
    .uniform_work_group_size: 1
    .uses_dynamic_stack: false
    .vgpr_count:     29
    .vgpr_spill_count: 0
    .wavefront_size: 32
    .workgroup_processor_mode: 1
  - .args:
      - .address_space:  global
        .offset:         0
        .size:           8
        .value_kind:     global_buffer
      - .address_space:  global
        .offset:         8
        .size:           8
        .value_kind:     global_buffer
      - .address_space:  global
        .offset:         16
        .size:           8
        .value_kind:     global_buffer
      - .address_space:  global
        .offset:         24
        .size:           8
        .value_kind:     global_buffer
      - .address_space:  global
        .offset:         32
        .size:           8
        .value_kind:     global_buffer
      - .address_space:  global
        .offset:         40
        .size:           8
        .value_kind:     global_buffer
      - .offset:         48
        .size:           4
        .value_kind:     by_value
      - .offset:         52
        .size:           4
        .value_kind:     by_value
      - .offset:         56
        .size:           4
        .value_kind:     by_value
      - .offset:         60
        .size:           4
        .value_kind:     by_value
      - .offset:         64
        .size:           4
        .value_kind:     by_value
      - .offset:         68
        .size:           4
        .value_kind:     by_value
      - .address_space:  global
        .offset:         72
        .size:           8
        .value_kind:     global_buffer
    .group_segment_fixed_size: 0
    .kernarg_segment_align: 8
    .kernarg_segment_size: 80
    .language:       OpenCL C
    .language_version:
      - 2
      - 0
    .max_flat_workgroup_size: 1024
    .name:           _ZN4vllm24merge_attn_states_kernelI14__hip_bfloat16N3c1013Float8_e4m3fnELj128ELb1EEEvPT0_PfPKT_PKfS9_SB_jjjjjjSB_
    .private_segment_fixed_size: 0
    .sgpr_count:     26
    .sgpr_spill_count: 0
    .symbol:         _ZN4vllm24merge_attn_states_kernelI14__hip_bfloat16N3c1013Float8_e4m3fnELj128ELb1EEEvPT0_PfPKT_PKfS9_SB_jjjjjjSB_.kd
    .uniform_work_group_size: 1
    .uses_dynamic_stack: false
    .vgpr_count:     32
    .vgpr_spill_count: 0
    .wavefront_size: 32
    .workgroup_processor_mode: 1
  - .args:
      - .address_space:  global
        .offset:         0
        .size:           8
        .value_kind:     global_buffer
      - .address_space:  global
        .offset:         8
        .size:           8
        .value_kind:     global_buffer
      - .address_space:  global
        .offset:         16
        .size:           8
        .value_kind:     global_buffer
      - .address_space:  global
        .offset:         24
        .size:           8
        .value_kind:     global_buffer
      - .address_space:  global
        .offset:         32
        .size:           8
        .value_kind:     global_buffer
      - .address_space:  global
        .offset:         40
        .size:           8
        .value_kind:     global_buffer
      - .offset:         48
        .size:           4
        .value_kind:     by_value
      - .offset:         52
        .size:           4
        .value_kind:     by_value
      - .offset:         56
        .size:           4
        .value_kind:     by_value
      - .offset:         60
        .size:           4
        .value_kind:     by_value
      - .offset:         64
        .size:           4
        .value_kind:     by_value
      - .offset:         68
        .size:           4
        .value_kind:     by_value
      - .address_space:  global
        .offset:         72
        .size:           8
        .value_kind:     global_buffer
    .group_segment_fixed_size: 0
    .kernarg_segment_align: 8
    .kernarg_segment_size: 80
    .language:       OpenCL C
    .language_version:
      - 2
      - 0
    .max_flat_workgroup_size: 1024
    .name:           _ZN4vllm24merge_attn_states_kernelI14__hip_bfloat16N3c1015Float8_e4m3fnuzELj128ELb1EEEvPT0_PfPKT_PKfS9_SB_jjjjjjSB_
    .private_segment_fixed_size: 0
    .sgpr_count:     26
    .sgpr_spill_count: 0
    .symbol:         _ZN4vllm24merge_attn_states_kernelI14__hip_bfloat16N3c1015Float8_e4m3fnuzELj128ELb1EEEvPT0_PfPKT_PKfS9_SB_jjjjjjSB_.kd
    .uniform_work_group_size: 1
    .uses_dynamic_stack: false
    .vgpr_count:     31
    .vgpr_spill_count: 0
    .wavefront_size: 32
    .workgroup_processor_mode: 1
  - .args:
      - .address_space:  global
        .offset:         0
        .size:           8
        .value_kind:     global_buffer
      - .address_space:  global
        .offset:         8
        .size:           8
        .value_kind:     global_buffer
      - .address_space:  global
        .offset:         16
        .size:           8
        .value_kind:     global_buffer
      - .address_space:  global
        .offset:         24
        .size:           8
        .value_kind:     global_buffer
      - .address_space:  global
        .offset:         32
        .size:           8
        .value_kind:     global_buffer
      - .address_space:  global
        .offset:         40
        .size:           8
        .value_kind:     global_buffer
      - .offset:         48
        .size:           4
        .value_kind:     by_value
      - .offset:         52
        .size:           4
        .value_kind:     by_value
      - .offset:         56
        .size:           4
        .value_kind:     by_value
      - .offset:         60
        .size:           4
        .value_kind:     by_value
      - .offset:         64
        .size:           4
        .value_kind:     by_value
      - .offset:         68
        .size:           4
        .value_kind:     by_value
      - .address_space:  global
        .offset:         72
        .size:           8
        .value_kind:     global_buffer
    .group_segment_fixed_size: 0
    .kernarg_segment_align: 8
    .kernarg_segment_size: 80
    .language:       OpenCL C
    .language_version:
      - 2
      - 0
    .max_flat_workgroup_size: 1024
    .name:           _ZN4vllm24merge_attn_states_kernelI14__hip_bfloat16S1_Lj128ELb0EEEvPT0_PfPKT_PKfS7_S9_jjjjjjS9_
    .private_segment_fixed_size: 0
    .sgpr_count:     22
    .sgpr_spill_count: 0
    .symbol:         _ZN4vllm24merge_attn_states_kernelI14__hip_bfloat16S1_Lj128ELb0EEEvPT0_PfPKT_PKfS7_S9_jjjjjjS9_.kd
    .uniform_work_group_size: 1
    .uses_dynamic_stack: false
    .vgpr_count:     29
    .vgpr_spill_count: 0
    .wavefront_size: 32
    .workgroup_processor_mode: 1
amdhsa.target:   amdgcn-amd-amdhsa--gfx1100
amdhsa.version:
  - 1
  - 2
...

	.end_amdgpu_metadata
